;; amdgpu-corpus repo=ROCm/rocFFT kind=compiled arch=gfx1201 opt=O3
	.text
	.amdgcn_target "amdgcn-amd-amdhsa--gfx1201"
	.amdhsa_code_object_version 6
	.protected	fft_rtc_fwd_len1200_factors_5_5_16_3_wgs_225_tpt_75_halfLds_dp_ip_CI_unitstride_sbrr_C2R_dirReg ; -- Begin function fft_rtc_fwd_len1200_factors_5_5_16_3_wgs_225_tpt_75_halfLds_dp_ip_CI_unitstride_sbrr_C2R_dirReg
	.globl	fft_rtc_fwd_len1200_factors_5_5_16_3_wgs_225_tpt_75_halfLds_dp_ip_CI_unitstride_sbrr_C2R_dirReg
	.p2align	8
	.type	fft_rtc_fwd_len1200_factors_5_5_16_3_wgs_225_tpt_75_halfLds_dp_ip_CI_unitstride_sbrr_C2R_dirReg,@function
fft_rtc_fwd_len1200_factors_5_5_16_3_wgs_225_tpt_75_halfLds_dp_ip_CI_unitstride_sbrr_C2R_dirReg: ; @fft_rtc_fwd_len1200_factors_5_5_16_3_wgs_225_tpt_75_halfLds_dp_ip_CI_unitstride_sbrr_C2R_dirReg
; %bb.0:
	s_load_b128 s[4:7], s[0:1], 0x0
	v_mul_u32_u24_e32 v1, 0x36a, v0
	s_clause 0x1
	s_load_b64 s[8:9], s[0:1], 0x50
	s_load_b64 s[10:11], s[0:1], 0x18
	v_mov_b32_e32 v5, 0
	v_lshrrev_b32_e32 v1, 16, v1
	s_delay_alu instid0(VALU_DEP_1) | instskip(SKIP_3) | instid1(VALU_DEP_1)
	v_mad_co_u64_u32 v[1:2], null, ttmp9, 3, v[1:2]
	v_mov_b32_e32 v3, 0
	v_mov_b32_e32 v4, 0
	;; [unrolled: 1-line block ×4, first 2 shown]
	s_wait_kmcnt 0x0
	v_cmp_lt_u64_e64 s2, s[6:7], 2
	v_mov_b32_e32 v9, v1
	s_delay_alu instid0(VALU_DEP_2)
	s_and_b32 vcc_lo, exec_lo, s2
	s_cbranch_vccnz .LBB0_8
; %bb.1:
	s_load_b64 s[2:3], s[0:1], 0x10
	v_dual_mov_b32 v3, 0 :: v_dual_mov_b32 v8, v2
	v_dual_mov_b32 v4, 0 :: v_dual_mov_b32 v7, v1
	s_add_nc_u64 s[12:13], s[10:11], 8
	s_mov_b64 s[14:15], 1
	s_wait_kmcnt 0x0
	s_add_nc_u64 s[16:17], s[2:3], 8
	s_mov_b32 s3, 0
.LBB0_2:                                ; =>This Inner Loop Header: Depth=1
	s_load_b64 s[18:19], s[16:17], 0x0
                                        ; implicit-def: $vgpr9_vgpr10
	s_mov_b32 s2, exec_lo
	s_wait_kmcnt 0x0
	v_or_b32_e32 v6, s19, v8
	s_delay_alu instid0(VALU_DEP_1)
	v_cmpx_ne_u64_e32 0, v[5:6]
	s_wait_alu 0xfffe
	s_xor_b32 s20, exec_lo, s2
	s_cbranch_execz .LBB0_4
; %bb.3:                                ;   in Loop: Header=BB0_2 Depth=1
	s_cvt_f32_u32 s2, s18
	s_cvt_f32_u32 s21, s19
	s_sub_nc_u64 s[24:25], 0, s[18:19]
	s_wait_alu 0xfffe
	s_delay_alu instid0(SALU_CYCLE_1) | instskip(SKIP_1) | instid1(SALU_CYCLE_2)
	s_fmamk_f32 s2, s21, 0x4f800000, s2
	s_wait_alu 0xfffe
	v_s_rcp_f32 s2, s2
	s_delay_alu instid0(TRANS32_DEP_1) | instskip(SKIP_1) | instid1(SALU_CYCLE_2)
	s_mul_f32 s2, s2, 0x5f7ffffc
	s_wait_alu 0xfffe
	s_mul_f32 s21, s2, 0x2f800000
	s_wait_alu 0xfffe
	s_delay_alu instid0(SALU_CYCLE_2) | instskip(SKIP_1) | instid1(SALU_CYCLE_2)
	s_trunc_f32 s21, s21
	s_wait_alu 0xfffe
	s_fmamk_f32 s2, s21, 0xcf800000, s2
	s_cvt_u32_f32 s23, s21
	s_wait_alu 0xfffe
	s_delay_alu instid0(SALU_CYCLE_1) | instskip(SKIP_1) | instid1(SALU_CYCLE_2)
	s_cvt_u32_f32 s22, s2
	s_wait_alu 0xfffe
	s_mul_u64 s[26:27], s[24:25], s[22:23]
	s_wait_alu 0xfffe
	s_mul_hi_u32 s29, s22, s27
	s_mul_i32 s28, s22, s27
	s_mul_hi_u32 s2, s22, s26
	s_mul_i32 s30, s23, s26
	s_wait_alu 0xfffe
	s_add_nc_u64 s[28:29], s[2:3], s[28:29]
	s_mul_hi_u32 s21, s23, s26
	s_mul_hi_u32 s31, s23, s27
	s_add_co_u32 s2, s28, s30
	s_wait_alu 0xfffe
	s_add_co_ci_u32 s2, s29, s21
	s_mul_i32 s26, s23, s27
	s_add_co_ci_u32 s27, s31, 0
	s_wait_alu 0xfffe
	s_add_nc_u64 s[26:27], s[2:3], s[26:27]
	s_wait_alu 0xfffe
	v_add_co_u32 v2, s2, s22, s26
	s_delay_alu instid0(VALU_DEP_1) | instskip(SKIP_1) | instid1(VALU_DEP_1)
	s_cmp_lg_u32 s2, 0
	s_add_co_ci_u32 s23, s23, s27
	v_readfirstlane_b32 s22, v2
	s_wait_alu 0xfffe
	s_delay_alu instid0(VALU_DEP_1)
	s_mul_u64 s[24:25], s[24:25], s[22:23]
	s_wait_alu 0xfffe
	s_mul_hi_u32 s27, s22, s25
	s_mul_i32 s26, s22, s25
	s_mul_hi_u32 s2, s22, s24
	s_mul_i32 s28, s23, s24
	s_wait_alu 0xfffe
	s_add_nc_u64 s[26:27], s[2:3], s[26:27]
	s_mul_hi_u32 s21, s23, s24
	s_mul_hi_u32 s22, s23, s25
	s_wait_alu 0xfffe
	s_add_co_u32 s2, s26, s28
	s_add_co_ci_u32 s2, s27, s21
	s_mul_i32 s24, s23, s25
	s_add_co_ci_u32 s25, s22, 0
	s_wait_alu 0xfffe
	s_add_nc_u64 s[24:25], s[2:3], s[24:25]
	s_wait_alu 0xfffe
	v_add_co_u32 v2, s2, v2, s24
	s_delay_alu instid0(VALU_DEP_1) | instskip(SKIP_1) | instid1(VALU_DEP_1)
	s_cmp_lg_u32 s2, 0
	s_add_co_ci_u32 s2, s23, s25
	v_mul_hi_u32 v6, v7, v2
	s_wait_alu 0xfffe
	v_mad_co_u64_u32 v[9:10], null, v7, s2, 0
	v_mad_co_u64_u32 v[11:12], null, v8, v2, 0
	;; [unrolled: 1-line block ×3, first 2 shown]
	s_delay_alu instid0(VALU_DEP_3) | instskip(SKIP_1) | instid1(VALU_DEP_4)
	v_add_co_u32 v2, vcc_lo, v6, v9
	s_wait_alu 0xfffd
	v_add_co_ci_u32_e32 v6, vcc_lo, 0, v10, vcc_lo
	s_delay_alu instid0(VALU_DEP_2) | instskip(SKIP_1) | instid1(VALU_DEP_2)
	v_add_co_u32 v2, vcc_lo, v2, v11
	s_wait_alu 0xfffd
	v_add_co_ci_u32_e32 v2, vcc_lo, v6, v12, vcc_lo
	s_wait_alu 0xfffd
	v_add_co_ci_u32_e32 v6, vcc_lo, 0, v14, vcc_lo
	s_delay_alu instid0(VALU_DEP_2) | instskip(SKIP_1) | instid1(VALU_DEP_2)
	v_add_co_u32 v2, vcc_lo, v2, v13
	s_wait_alu 0xfffd
	v_add_co_ci_u32_e32 v6, vcc_lo, 0, v6, vcc_lo
	s_delay_alu instid0(VALU_DEP_2) | instskip(SKIP_1) | instid1(VALU_DEP_3)
	v_mul_lo_u32 v11, s19, v2
	v_mad_co_u64_u32 v[9:10], null, s18, v2, 0
	v_mul_lo_u32 v12, s18, v6
	s_delay_alu instid0(VALU_DEP_2) | instskip(NEXT) | instid1(VALU_DEP_2)
	v_sub_co_u32 v9, vcc_lo, v7, v9
	v_add3_u32 v10, v10, v12, v11
	s_delay_alu instid0(VALU_DEP_1) | instskip(SKIP_1) | instid1(VALU_DEP_1)
	v_sub_nc_u32_e32 v11, v8, v10
	s_wait_alu 0xfffd
	v_subrev_co_ci_u32_e64 v11, s2, s19, v11, vcc_lo
	v_add_co_u32 v12, s2, v2, 2
	s_wait_alu 0xf1ff
	v_add_co_ci_u32_e64 v13, s2, 0, v6, s2
	v_sub_co_u32 v14, s2, v9, s18
	v_sub_co_ci_u32_e32 v10, vcc_lo, v8, v10, vcc_lo
	s_wait_alu 0xf1ff
	v_subrev_co_ci_u32_e64 v11, s2, 0, v11, s2
	s_delay_alu instid0(VALU_DEP_3) | instskip(NEXT) | instid1(VALU_DEP_3)
	v_cmp_le_u32_e32 vcc_lo, s18, v14
	v_cmp_eq_u32_e64 s2, s19, v10
	s_wait_alu 0xfffd
	v_cndmask_b32_e64 v14, 0, -1, vcc_lo
	v_cmp_le_u32_e32 vcc_lo, s19, v11
	s_wait_alu 0xfffd
	v_cndmask_b32_e64 v15, 0, -1, vcc_lo
	v_cmp_le_u32_e32 vcc_lo, s18, v9
	;; [unrolled: 3-line block ×3, first 2 shown]
	s_wait_alu 0xfffd
	v_cndmask_b32_e64 v16, 0, -1, vcc_lo
	v_cmp_eq_u32_e32 vcc_lo, s19, v11
	s_wait_alu 0xf1ff
	s_delay_alu instid0(VALU_DEP_2)
	v_cndmask_b32_e64 v9, v16, v9, s2
	s_wait_alu 0xfffd
	v_cndmask_b32_e32 v11, v15, v14, vcc_lo
	v_add_co_u32 v14, vcc_lo, v2, 1
	s_wait_alu 0xfffd
	v_add_co_ci_u32_e32 v15, vcc_lo, 0, v6, vcc_lo
	s_delay_alu instid0(VALU_DEP_3) | instskip(SKIP_1) | instid1(VALU_DEP_2)
	v_cmp_ne_u32_e32 vcc_lo, 0, v11
	s_wait_alu 0xfffd
	v_dual_cndmask_b32 v10, v15, v13 :: v_dual_cndmask_b32 v11, v14, v12
	v_cmp_ne_u32_e32 vcc_lo, 0, v9
	s_wait_alu 0xfffd
	s_delay_alu instid0(VALU_DEP_2) | instskip(NEXT) | instid1(VALU_DEP_3)
	v_cndmask_b32_e32 v10, v6, v10, vcc_lo
	v_cndmask_b32_e32 v9, v2, v11, vcc_lo
.LBB0_4:                                ;   in Loop: Header=BB0_2 Depth=1
	s_wait_alu 0xfffe
	s_and_not1_saveexec_b32 s2, s20
	s_cbranch_execz .LBB0_6
; %bb.5:                                ;   in Loop: Header=BB0_2 Depth=1
	v_cvt_f32_u32_e32 v2, s18
	s_sub_co_i32 s20, 0, s18
	s_delay_alu instid0(VALU_DEP_1) | instskip(NEXT) | instid1(TRANS32_DEP_1)
	v_rcp_iflag_f32_e32 v2, v2
	v_mul_f32_e32 v2, 0x4f7ffffe, v2
	s_delay_alu instid0(VALU_DEP_1) | instskip(SKIP_1) | instid1(VALU_DEP_1)
	v_cvt_u32_f32_e32 v2, v2
	s_wait_alu 0xfffe
	v_mul_lo_u32 v6, s20, v2
	s_delay_alu instid0(VALU_DEP_1) | instskip(NEXT) | instid1(VALU_DEP_1)
	v_mul_hi_u32 v6, v2, v6
	v_add_nc_u32_e32 v2, v2, v6
	s_delay_alu instid0(VALU_DEP_1) | instskip(NEXT) | instid1(VALU_DEP_1)
	v_mul_hi_u32 v2, v7, v2
	v_mul_lo_u32 v6, v2, s18
	v_add_nc_u32_e32 v9, 1, v2
	s_delay_alu instid0(VALU_DEP_2) | instskip(NEXT) | instid1(VALU_DEP_1)
	v_sub_nc_u32_e32 v6, v7, v6
	v_subrev_nc_u32_e32 v10, s18, v6
	v_cmp_le_u32_e32 vcc_lo, s18, v6
	s_wait_alu 0xfffd
	s_delay_alu instid0(VALU_DEP_2) | instskip(SKIP_2) | instid1(VALU_DEP_3)
	v_cndmask_b32_e32 v6, v6, v10, vcc_lo
	v_mov_b32_e32 v10, v5
	v_cndmask_b32_e32 v2, v2, v9, vcc_lo
	v_cmp_le_u32_e32 vcc_lo, s18, v6
	s_delay_alu instid0(VALU_DEP_2) | instskip(SKIP_1) | instid1(VALU_DEP_1)
	v_add_nc_u32_e32 v9, 1, v2
	s_wait_alu 0xfffd
	v_cndmask_b32_e32 v9, v2, v9, vcc_lo
.LBB0_6:                                ;   in Loop: Header=BB0_2 Depth=1
	s_wait_alu 0xfffe
	s_or_b32 exec_lo, exec_lo, s2
	s_load_b64 s[20:21], s[12:13], 0x0
	v_mul_lo_u32 v2, v10, s18
	v_mul_lo_u32 v6, v9, s19
	v_mad_co_u64_u32 v[11:12], null, v9, s18, 0
	s_add_nc_u64 s[14:15], s[14:15], 1
	s_add_nc_u64 s[12:13], s[12:13], 8
	s_wait_alu 0xfffe
	v_cmp_ge_u64_e64 s2, s[14:15], s[6:7]
	s_add_nc_u64 s[16:17], s[16:17], 8
	s_delay_alu instid0(VALU_DEP_2) | instskip(NEXT) | instid1(VALU_DEP_3)
	v_add3_u32 v2, v12, v6, v2
	v_sub_co_u32 v6, vcc_lo, v7, v11
	s_wait_alu 0xfffd
	s_delay_alu instid0(VALU_DEP_2) | instskip(SKIP_3) | instid1(VALU_DEP_2)
	v_sub_co_ci_u32_e32 v2, vcc_lo, v8, v2, vcc_lo
	s_and_b32 vcc_lo, exec_lo, s2
	s_wait_kmcnt 0x0
	v_mul_lo_u32 v7, s21, v6
	v_mul_lo_u32 v2, s20, v2
	v_mad_co_u64_u32 v[3:4], null, s20, v6, v[3:4]
	s_delay_alu instid0(VALU_DEP_1)
	v_add3_u32 v4, v7, v4, v2
	s_wait_alu 0xfffe
	s_cbranch_vccnz .LBB0_8
; %bb.7:                                ;   in Loop: Header=BB0_2 Depth=1
	v_dual_mov_b32 v7, v9 :: v_dual_mov_b32 v8, v10
	s_branch .LBB0_2
.LBB0_8:
	s_lshl_b64 s[2:3], s[6:7], 3
	v_mul_hi_u32 v2, 0xaaaaaaab, v1
	s_wait_alu 0xfffe
	s_add_nc_u64 s[2:3], s[10:11], s[2:3]
	s_load_b64 s[0:1], s[0:1], 0x20
	s_load_b64 s[2:3], s[2:3], 0x0
	v_mul_hi_u32 v5, 0x369d037, v0
	s_delay_alu instid0(VALU_DEP_2) | instskip(NEXT) | instid1(VALU_DEP_1)
	v_lshrrev_b32_e32 v2, 1, v2
	v_lshl_add_u32 v6, v2, 1, v2
	s_delay_alu instid0(VALU_DEP_1)
	v_sub_nc_u32_e32 v1, v1, v6
	s_wait_kmcnt 0x0
	v_cmp_gt_u64_e32 vcc_lo, s[0:1], v[9:10]
	v_mul_lo_u32 v7, s2, v10
	v_mul_lo_u32 v8, s3, v9
	v_mad_co_u64_u32 v[2:3], null, s2, v9, v[3:4]
	v_mul_u32_u24_e32 v4, 0x4b, v5
	v_mul_u32_u24_e32 v101, 0x4b1, v1
	s_delay_alu instid0(VALU_DEP_2) | instskip(NEXT) | instid1(VALU_DEP_4)
	v_sub_nc_u32_e32 v96, v0, v4
	v_add3_u32 v3, v8, v3, v7
	s_delay_alu instid0(VALU_DEP_3) | instskip(NEXT) | instid1(VALU_DEP_2)
	v_lshlrev_b32_e32 v102, 4, v101
	v_lshlrev_b64_e32 v[98:99], 4, v[2:3]
	s_and_saveexec_b32 s1, vcc_lo
	s_cbranch_execz .LBB0_12
; %bb.9:
	v_mov_b32_e32 v97, 0
	s_delay_alu instid0(VALU_DEP_2) | instskip(SKIP_2) | instid1(VALU_DEP_3)
	v_add_co_u32 v0, s0, s8, v98
	s_wait_alu 0xf1ff
	v_add_co_ci_u32_e64 v1, s0, s9, v99, s0
	v_lshlrev_b64_e32 v[2:3], 4, v[96:97]
	s_mov_b32 s2, exec_lo
	s_delay_alu instid0(VALU_DEP_1) | instskip(SKIP_2) | instid1(VALU_DEP_3)
	v_add_co_u32 v63, s0, v0, v2
	v_lshlrev_b32_e32 v2, 4, v96
	s_wait_alu 0xf1ff
	v_add_co_ci_u32_e64 v64, s0, v1, v3, s0
	s_clause 0xf
	global_load_b128 v[3:6], v[63:64], off
	global_load_b128 v[7:10], v[63:64], off offset:1200
	global_load_b128 v[11:14], v[63:64], off offset:2400
	global_load_b128 v[15:18], v[63:64], off offset:3600
	global_load_b128 v[19:22], v[63:64], off offset:4800
	global_load_b128 v[23:26], v[63:64], off offset:6000
	global_load_b128 v[27:30], v[63:64], off offset:7200
	global_load_b128 v[31:34], v[63:64], off offset:8400
	global_load_b128 v[35:38], v[63:64], off offset:9600
	global_load_b128 v[39:42], v[63:64], off offset:10800
	global_load_b128 v[43:46], v[63:64], off offset:12000
	global_load_b128 v[47:50], v[63:64], off offset:13200
	global_load_b128 v[51:54], v[63:64], off offset:14400
	global_load_b128 v[55:58], v[63:64], off offset:15600
	global_load_b128 v[59:62], v[63:64], off offset:16800
	global_load_b128 v[63:66], v[63:64], off offset:18000
	v_add3_u32 v2, 0, v102, v2
	s_wait_loadcnt 0xf
	ds_store_b128 v2, v[3:6]
	s_wait_loadcnt 0xe
	ds_store_b128 v2, v[7:10] offset:1200
	s_wait_loadcnt 0xd
	ds_store_b128 v2, v[11:14] offset:2400
	;; [unrolled: 2-line block ×15, first 2 shown]
	v_cmpx_eq_u32_e32 0x4a, v96
	s_cbranch_execz .LBB0_11
; %bb.10:
	global_load_b128 v[3:6], v[0:1], off offset:19200
	v_mov_b32_e32 v96, 0x4a
	s_wait_loadcnt 0x0
	ds_store_b128 v2, v[3:6] offset:18016
.LBB0_11:
	s_wait_alu 0xfffe
	s_or_b32 exec_lo, exec_lo, s2
.LBB0_12:
	s_wait_alu 0xfffe
	s_or_b32 exec_lo, exec_lo, s1
	v_lshl_add_u32 v100, v101, 4, 0
	v_lshlrev_b32_e32 v0, 4, v96
	global_wb scope:SCOPE_SE
	s_wait_dscnt 0x0
	s_barrier_signal -1
	s_barrier_wait -1
	global_inv scope:SCOPE_SE
	v_add_nc_u32_e32 v103, v100, v0
	v_sub_nc_u32_e32 v10, v100, v0
	s_mov_b32 s1, exec_lo
                                        ; implicit-def: $vgpr4_vgpr5
	ds_load_b64 v[6:7], v103
	ds_load_b64 v[8:9], v10 offset:19200
	s_wait_dscnt 0x0
	v_add_f64_e32 v[0:1], v[6:7], v[8:9]
	v_add_f64_e64 v[2:3], v[6:7], -v[8:9]
	v_cmpx_ne_u32_e32 0, v96
	s_wait_alu 0xfffe
	s_xor_b32 s1, exec_lo, s1
	s_cbranch_execz .LBB0_14
; %bb.13:
	v_mov_b32_e32 v97, 0
	v_add_f64_e32 v[13:14], v[6:7], v[8:9]
	v_add_f64_e64 v[15:16], v[6:7], -v[8:9]
	s_delay_alu instid0(VALU_DEP_3) | instskip(NEXT) | instid1(VALU_DEP_1)
	v_lshlrev_b64_e32 v[0:1], 4, v[96:97]
	v_add_co_u32 v0, s0, s4, v0
	s_wait_alu 0xf1ff
	s_delay_alu instid0(VALU_DEP_2)
	v_add_co_ci_u32_e64 v1, s0, s5, v1, s0
	global_load_b128 v[2:5], v[0:1], off offset:19120
	ds_load_b64 v[0:1], v10 offset:19208
	ds_load_b64 v[11:12], v103 offset:8
	s_wait_dscnt 0x0
	v_add_f64_e32 v[6:7], v[0:1], v[11:12]
	v_add_f64_e64 v[0:1], v[11:12], -v[0:1]
	s_wait_loadcnt 0x0
	v_fma_f64 v[8:9], v[15:16], v[4:5], v[13:14]
	v_fma_f64 v[11:12], -v[15:16], v[4:5], v[13:14]
	s_delay_alu instid0(VALU_DEP_3) | instskip(SKIP_1) | instid1(VALU_DEP_4)
	v_fma_f64 v[13:14], v[6:7], v[4:5], -v[0:1]
	v_fma_f64 v[4:5], v[6:7], v[4:5], v[0:1]
	v_fma_f64 v[0:1], -v[6:7], v[2:3], v[8:9]
	s_delay_alu instid0(VALU_DEP_4) | instskip(NEXT) | instid1(VALU_DEP_4)
	v_fma_f64 v[6:7], v[6:7], v[2:3], v[11:12]
	v_fma_f64 v[8:9], v[15:16], v[2:3], v[13:14]
	s_delay_alu instid0(VALU_DEP_4)
	v_fma_f64 v[2:3], v[15:16], v[2:3], v[4:5]
	v_dual_mov_b32 v4, v96 :: v_dual_mov_b32 v5, v97
	ds_store_b128 v10, v[6:9] offset:19200
.LBB0_14:
	s_wait_alu 0xfffe
	s_and_not1_saveexec_b32 s0, s1
	s_cbranch_execz .LBB0_16
; %bb.15:
	ds_load_b128 v[4:7], v100 offset:9600
	s_wait_dscnt 0x0
	v_add_f64_e32 v[11:12], v[4:5], v[4:5]
	v_mul_f64_e32 v[13:14], -2.0, v[6:7]
	v_mov_b32_e32 v4, 0
	v_mov_b32_e32 v5, 0
	ds_store_b128 v100, v[11:14] offset:9600
.LBB0_16:
	s_wait_alu 0xfffe
	s_or_b32 exec_lo, exec_lo, s0
	v_lshlrev_b64_e32 v[4:5], 4, v[4:5]
	s_add_nc_u64 s[0:1], s[4:5], 0x4ab0
	v_lshl_add_u32 v97, v96, 4, 0
	s_mov_b32 s10, 0x134454ff
	s_mov_b32 s11, 0x3fee6f0e
	;; [unrolled: 1-line block ×3, first 2 shown]
	s_wait_alu 0xfffe
	v_add_co_u32 v23, s0, s0, v4
	s_wait_alu 0xf1ff
	v_add_co_ci_u32_e64 v24, s0, s1, v5, s0
	v_add_nc_u32_e32 v104, v97, v102
	s_mov_b32 s12, s10
	s_mov_b32 s2, 0x4755a5e
	s_clause 0x1
	global_load_b128 v[4:7], v[23:24], off offset:1200
	global_load_b128 v[11:14], v[23:24], off offset:2400
	ds_store_b128 v103, v[0:3]
	ds_load_b128 v[0:3], v103 offset:1200
	ds_load_b128 v[15:18], v10 offset:18000
	global_load_b128 v[19:22], v[23:24], off offset:3600
	s_mov_b32 s3, 0x3fe2cf23
	s_mov_b32 s7, 0xbfe2cf23
	s_wait_alu 0xfffe
	s_mov_b32 s6, s2
	s_mov_b32 s0, 0x372fe950
	;; [unrolled: 1-line block ×3, first 2 shown]
	s_wait_dscnt 0x0
	v_add_f64_e32 v[8:9], v[0:1], v[15:16]
	v_add_f64_e32 v[25:26], v[17:18], v[2:3]
	v_add_f64_e64 v[15:16], v[0:1], -v[15:16]
	v_add_f64_e64 v[0:1], v[2:3], -v[17:18]
	s_wait_loadcnt 0x2
	s_delay_alu instid0(VALU_DEP_2) | instskip(NEXT) | instid1(VALU_DEP_2)
	v_fma_f64 v[2:3], v[15:16], v[6:7], v[8:9]
	v_fma_f64 v[17:18], v[25:26], v[6:7], v[0:1]
	v_fma_f64 v[8:9], -v[15:16], v[6:7], v[8:9]
	v_fma_f64 v[27:28], v[25:26], v[6:7], -v[0:1]
	s_delay_alu instid0(VALU_DEP_4) | instskip(NEXT) | instid1(VALU_DEP_4)
	v_fma_f64 v[0:1], -v[25:26], v[4:5], v[2:3]
	v_fma_f64 v[2:3], v[15:16], v[4:5], v[17:18]
	s_delay_alu instid0(VALU_DEP_4) | instskip(NEXT) | instid1(VALU_DEP_4)
	v_fma_f64 v[6:7], v[25:26], v[4:5], v[8:9]
	v_fma_f64 v[8:9], v[15:16], v[4:5], v[27:28]
	ds_store_b128 v103, v[0:3] offset:1200
	ds_store_b128 v10, v[6:9] offset:18000
	ds_load_b128 v[0:3], v103 offset:2400
	ds_load_b128 v[4:7], v10 offset:16800
	global_load_b128 v[15:18], v[23:24], off offset:4800
	s_wait_dscnt 0x0
	v_add_f64_e32 v[8:9], v[0:1], v[4:5]
	v_add_f64_e32 v[25:26], v[6:7], v[2:3]
	v_add_f64_e64 v[27:28], v[0:1], -v[4:5]
	v_add_f64_e64 v[0:1], v[2:3], -v[6:7]
	s_wait_loadcnt 0x2
	s_delay_alu instid0(VALU_DEP_2) | instskip(NEXT) | instid1(VALU_DEP_2)
	v_fma_f64 v[2:3], v[27:28], v[13:14], v[8:9]
	v_fma_f64 v[4:5], v[25:26], v[13:14], v[0:1]
	v_fma_f64 v[6:7], -v[27:28], v[13:14], v[8:9]
	v_fma_f64 v[8:9], v[25:26], v[13:14], -v[0:1]
	s_delay_alu instid0(VALU_DEP_4) | instskip(NEXT) | instid1(VALU_DEP_4)
	v_fma_f64 v[0:1], -v[25:26], v[11:12], v[2:3]
	v_fma_f64 v[2:3], v[27:28], v[11:12], v[4:5]
	s_delay_alu instid0(VALU_DEP_4) | instskip(NEXT) | instid1(VALU_DEP_4)
	v_fma_f64 v[4:5], v[25:26], v[11:12], v[6:7]
	v_fma_f64 v[6:7], v[27:28], v[11:12], v[8:9]
	ds_store_b128 v103, v[0:3] offset:2400
	ds_store_b128 v10, v[4:7] offset:16800
	ds_load_b128 v[0:3], v103 offset:3600
	ds_load_b128 v[4:7], v10 offset:15600
	global_load_b128 v[11:14], v[23:24], off offset:6000
	;; [unrolled: 22-line block ×4, first 2 shown]
	s_wait_dscnt 0x0
	v_add_f64_e32 v[8:9], v[0:1], v[4:5]
	v_add_f64_e32 v[23:24], v[6:7], v[2:3]
	v_add_f64_e64 v[25:26], v[0:1], -v[4:5]
	v_add_f64_e64 v[0:1], v[2:3], -v[6:7]
	s_wait_loadcnt 0x2
	s_delay_alu instid0(VALU_DEP_2) | instskip(NEXT) | instid1(VALU_DEP_2)
	v_fma_f64 v[2:3], v[25:26], v[13:14], v[8:9]
	v_fma_f64 v[4:5], v[23:24], v[13:14], v[0:1]
	v_fma_f64 v[6:7], -v[25:26], v[13:14], v[8:9]
	v_fma_f64 v[8:9], v[23:24], v[13:14], -v[0:1]
	s_delay_alu instid0(VALU_DEP_4) | instskip(NEXT) | instid1(VALU_DEP_4)
	v_fma_f64 v[0:1], -v[23:24], v[11:12], v[2:3]
	v_fma_f64 v[2:3], v[25:26], v[11:12], v[4:5]
	s_delay_alu instid0(VALU_DEP_4) | instskip(NEXT) | instid1(VALU_DEP_4)
	v_fma_f64 v[4:5], v[23:24], v[11:12], v[6:7]
	v_fma_f64 v[6:7], v[25:26], v[11:12], v[8:9]
	ds_store_b128 v103, v[0:3] offset:6000
	ds_store_b128 v10, v[4:7] offset:13200
	ds_load_b128 v[0:3], v103 offset:7200
	ds_load_b128 v[4:7], v10 offset:12000
	s_wait_dscnt 0x0
	v_add_f64_e32 v[8:9], v[0:1], v[4:5]
	v_add_f64_e32 v[11:12], v[6:7], v[2:3]
	v_add_f64_e64 v[13:14], v[0:1], -v[4:5]
	v_add_f64_e64 v[0:1], v[2:3], -v[6:7]
	s_wait_loadcnt 0x1
	s_delay_alu instid0(VALU_DEP_2) | instskip(NEXT) | instid1(VALU_DEP_2)
	v_fma_f64 v[2:3], v[13:14], v[21:22], v[8:9]
	v_fma_f64 v[4:5], v[11:12], v[21:22], v[0:1]
	v_fma_f64 v[6:7], -v[13:14], v[21:22], v[8:9]
	v_fma_f64 v[8:9], v[11:12], v[21:22], -v[0:1]
	s_delay_alu instid0(VALU_DEP_4) | instskip(NEXT) | instid1(VALU_DEP_4)
	v_fma_f64 v[0:1], -v[11:12], v[19:20], v[2:3]
	v_fma_f64 v[2:3], v[13:14], v[19:20], v[4:5]
	s_delay_alu instid0(VALU_DEP_4) | instskip(NEXT) | instid1(VALU_DEP_4)
	v_fma_f64 v[4:5], v[11:12], v[19:20], v[6:7]
	v_fma_f64 v[6:7], v[13:14], v[19:20], v[8:9]
	ds_store_b128 v103, v[0:3] offset:7200
	ds_store_b128 v10, v[4:7] offset:12000
	ds_load_b128 v[0:3], v103 offset:8400
	ds_load_b128 v[4:7], v10 offset:10800
	s_wait_dscnt 0x0
	v_add_f64_e32 v[8:9], v[0:1], v[4:5]
	v_add_f64_e32 v[11:12], v[6:7], v[2:3]
	v_add_f64_e64 v[13:14], v[0:1], -v[4:5]
	v_add_f64_e64 v[0:1], v[2:3], -v[6:7]
	s_wait_loadcnt 0x0
	s_delay_alu instid0(VALU_DEP_2) | instskip(NEXT) | instid1(VALU_DEP_2)
	v_fma_f64 v[2:3], v[13:14], v[17:18], v[8:9]
	v_fma_f64 v[4:5], v[11:12], v[17:18], v[0:1]
	v_fma_f64 v[6:7], -v[13:14], v[17:18], v[8:9]
	v_fma_f64 v[8:9], v[11:12], v[17:18], -v[0:1]
	s_delay_alu instid0(VALU_DEP_4) | instskip(NEXT) | instid1(VALU_DEP_4)
	v_fma_f64 v[0:1], -v[11:12], v[15:16], v[2:3]
	v_fma_f64 v[2:3], v[13:14], v[15:16], v[4:5]
	s_delay_alu instid0(VALU_DEP_4) | instskip(NEXT) | instid1(VALU_DEP_4)
	v_fma_f64 v[4:5], v[11:12], v[15:16], v[6:7]
	v_fma_f64 v[6:7], v[13:14], v[15:16], v[8:9]
	ds_store_b128 v103, v[0:3] offset:8400
	ds_store_b128 v10, v[4:7] offset:10800
	global_wb scope:SCOPE_SE
	s_wait_dscnt 0x0
	s_barrier_signal -1
	s_barrier_wait -1
	global_inv scope:SCOPE_SE
	global_wb scope:SCOPE_SE
	s_barrier_signal -1
	s_barrier_wait -1
	global_inv scope:SCOPE_SE
	ds_load_b128 v[0:3], v104 offset:3840
	ds_load_b128 v[4:7], v103
	ds_load_b128 v[8:11], v104 offset:1200
	ds_load_b128 v[12:15], v104 offset:5040
	;; [unrolled: 1-line block ×18, first 2 shown]
	global_wb scope:SCOPE_SE
	s_wait_dscnt 0x0
	s_barrier_signal -1
	s_barrier_wait -1
	global_inv scope:SCOPE_SE
	v_add_f64_e32 v[125:126], v[28:29], v[32:33]
	v_add_f64_e32 v[137:138], v[30:31], v[34:35]
	v_add_f64_e64 v[129:130], v[36:37], -v[32:33]
	v_add_f64_e64 v[135:136], v[32:33], -v[36:37]
	v_add_f64_e32 v[157:158], v[40:41], v[48:49]
	v_add_f64_e32 v[80:81], v[4:5], v[0:1]
	;; [unrolled: 1-line block ×6, first 2 shown]
	v_add_f64_e64 v[90:91], v[2:3], -v[26:27]
	v_add_f64_e64 v[92:93], v[22:23], -v[18:19]
	;; [unrolled: 1-line block ×3, first 2 shown]
	v_add_f64_e32 v[107:108], v[0:1], v[24:25]
	v_add_f64_e64 v[109:110], v[20:21], -v[0:1]
	v_add_f64_e32 v[113:114], v[22:23], v[18:19]
	v_add_f64_e64 v[115:116], v[0:1], -v[24:25]
	v_add_f64_e64 v[117:118], v[20:21], -v[16:17]
	;; [unrolled: 1-line block ×3, first 2 shown]
	v_add_f64_e32 v[121:122], v[2:3], v[26:27]
	v_add_f64_e64 v[2:3], v[22:23], -v[2:3]
	v_add_f64_e32 v[131:132], v[12:13], v[36:37]
	v_add_f64_e32 v[141:142], v[14:15], v[38:39]
	;; [unrolled: 1-line block ×11, first 2 shown]
	v_add_f64_e64 v[105:106], v[24:25], -v[16:17]
	v_add_f64_e64 v[111:112], v[16:17], -v[24:25]
	;; [unrolled: 1-line block ×11, first 2 shown]
	v_add_f64_e32 v[20:21], v[80:81], v[20:21]
	v_add_f64_e32 v[22:23], v[82:83], v[22:23]
	;; [unrolled: 1-line block ×4, first 2 shown]
	v_add_f64_e64 v[163:164], v[56:57], -v[48:49]
	v_add_f64_e64 v[165:166], v[50:51], -v[58:59]
	;; [unrolled: 1-line block ×10, first 2 shown]
	v_fma_f64 v[88:89], v[88:89], -0.5, v[4:5]
	v_fma_f64 v[4:5], v[107:108], -0.5, v[4:5]
	;; [unrolled: 1-line block ×4, first 2 shown]
	v_add_f64_e64 v[113:114], v[62:63], -v[54:55]
	v_fma_f64 v[125:126], v[125:126], -0.5, v[8:9]
	v_fma_f64 v[8:9], v[131:132], -0.5, v[8:9]
	;; [unrolled: 1-line block ×8, first 2 shown]
	v_add_f64_e64 v[153:154], v[30:31], -v[34:35]
	v_add_f64_e32 v[84:85], v[84:85], v[28:29]
	v_add_f64_e32 v[30:31], v[86:87], v[30:31]
	v_add_f64_e64 v[28:29], v[28:29], -v[32:33]
	v_add_f64_e64 v[14:15], v[14:15], -v[38:39]
	v_add_f64_e64 v[12:13], v[12:13], -v[36:37]
	v_add_f64_e64 v[86:87], v[58:59], -v[66:67]
	v_add_f64_e32 v[157:158], v[157:158], v[56:57]
	v_add_f64_e32 v[58:59], v[159:160], v[58:59]
	v_add_f64_e64 v[56:57], v[56:57], -v[64:65]
	v_add_f64_e64 v[50:51], v[50:51], -v[74:75]
	v_add_f64_e64 v[48:49], v[48:49], -v[72:73]
	;; [unrolled: 6-line block ×3, first 2 shown]
	v_fma_f64 v[179:180], v[181:182], -0.5, v[44:45]
	v_fma_f64 v[44:45], v[80:81], -0.5, v[44:45]
	;; [unrolled: 1-line block ×4, first 2 shown]
	v_add_f64_e64 v[151:152], v[70:71], -v[78:79]
	v_add_f64_e64 v[121:122], v[76:77], -v[68:69]
	;; [unrolled: 1-line block ×4, first 2 shown]
	v_add_f64_e32 v[82:83], v[94:95], v[105:106]
	v_add_f64_e32 v[94:95], v[0:1], v[119:120]
	;; [unrolled: 1-line block ×16, first 2 shown]
	v_fma_f64 v[22:23], v[90:91], s[10:11], v[88:89]
	v_fma_f64 v[30:31], v[115:116], s[12:13], v[107:108]
	;; [unrolled: 1-line block ×26, first 2 shown]
	v_add_f64_e32 v[113:114], v[113:114], v[151:152]
	v_fma_f64 v[151:152], v[153:154], s[12:13], v[8:9]
	v_fma_f64 v[7:8], v[153:154], s[10:11], v[8:9]
	;; [unrolled: 1-line block ×6, first 2 shown]
	v_add_f64_e32 v[121:122], v[183:184], v[121:122]
	v_add_f64_e32 v[141:142], v[189:190], v[141:142]
	;; [unrolled: 1-line block ×9, first 2 shown]
	v_fma_f64 v[16:17], v[92:93], s[2:3], v[22:23]
	s_wait_alu 0xfffe
	v_fma_f64 v[22:23], v[117:118], s[6:7], v[30:31]
	v_fma_f64 v[24:25], v[92:93], s[6:7], v[32:33]
	;; [unrolled: 1-line block ×31, first 2 shown]
	v_add_f64_e32 v[12:13], v[18:19], v[36:37]
	v_add_f64_e32 v[14:15], v[20:21], v[38:39]
	;; [unrolled: 1-line block ×6, first 2 shown]
	v_fma_f64 v[36:37], v[82:83], s[0:1], v[16:17]
	v_fma_f64 v[38:39], v[94:95], s[0:1], v[22:23]
	;; [unrolled: 1-line block ×32, first 2 shown]
	v_mad_u32_u24 v5, 0x50, v96, 0
	v_cmp_gt_u32_e64 s0, 15, v96
	s_delay_alu instid0(VALU_DEP_2) | instskip(SKIP_1) | instid1(VALU_DEP_2)
	v_add_nc_u32_e32 v0, 0x2ee0, v5
	v_add_nc_u32_e32 v5, v5, v102
	;; [unrolled: 1-line block ×3, first 2 shown]
	ds_store_b128 v5, v[1:4]
	ds_store_b128 v5, v[36:39] offset:16
	ds_store_b128 v5, v[44:47] offset:32
	;; [unrolled: 1-line block ×9, first 2 shown]
	ds_store_b128 v6, v[32:35]
	ds_store_b128 v6, v[68:71] offset:16
	ds_store_b128 v6, v[76:79] offset:32
	;; [unrolled: 1-line block ×4, first 2 shown]
	s_and_saveexec_b32 s1, s0
	s_cbranch_execz .LBB0_18
; %bb.17:
	v_lshl_add_u32 v0, v101, 4, v0
	s_delay_alu instid0(VALU_DEP_1)
	v_add_nc_u32_e32 v1, 0x1000, v0
	ds_store_b128 v0, v[8:11] offset:6000
	ds_store_2addr_b64 v1, v[16:17], v[18:19] offset0:240 offset1:241
	ds_store_2addr_b64 v1, v[20:21], v[22:23] offset0:242 offset1:243
	;; [unrolled: 1-line block ×4, first 2 shown]
.LBB0_18:
	s_wait_alu 0xfffe
	s_or_b32 exec_lo, exec_lo, s1
	global_wb scope:SCOPE_SE
	s_wait_dscnt 0x0
	s_barrier_signal -1
	s_barrier_wait -1
	global_inv scope:SCOPE_SE
	ds_load_b128 v[12:15], v103
	ds_load_b128 v[0:3], v104 offset:1200
	ds_load_b128 v[72:75], v104 offset:7680
	;; [unrolled: 1-line block ×14, first 2 shown]
	s_and_saveexec_b32 s1, s0
	s_cbranch_execz .LBB0_20
; %bb.19:
	ds_load_b128 v[8:11], v104 offset:3600
	ds_load_b128 v[16:19], v104 offset:7440
	;; [unrolled: 1-line block ×5, first 2 shown]
.LBB0_20:
	s_wait_alu 0xfffe
	s_or_b32 exec_lo, exec_lo, s1
	v_and_b32_e32 v108, 0xff, v96
	v_add_nc_u32_e32 v105, 0x4b, v96
	v_add_nc_u32_e32 v106, 0x96, v96
	;; [unrolled: 1-line block ×3, first 2 shown]
	s_mov_b32 s2, 0x134454ff
	v_mul_lo_u16 v80, 0xcd, v108
	v_and_b32_e32 v81, 0xff, v105
	v_and_b32_e32 v82, 0xff, v106
	s_mov_b32 s3, 0x3fee6f0e
	s_mov_b32 s7, 0xbfee6f0e
	v_lshrrev_b16 v109, 10, v80
	v_mul_lo_u16 v81, 0xcd, v81
	s_wait_alu 0xfffe
	s_mov_b32 s6, s2
	s_mov_b32 s10, 0x4755a5e
	;; [unrolled: 1-line block ×3, first 2 shown]
	v_mul_lo_u16 v80, v109, 5
	v_lshrrev_b16 v112, 10, v81
	s_mov_b32 s13, 0xbfe2cf23
	s_wait_alu 0xfffe
	s_mov_b32 s12, s10
	v_and_b32_e32 v109, 0xffff, v109
	v_sub_nc_u16 v80, v96, v80
	v_mul_lo_u16 v83, v112, 5
	v_and_b32_e32 v112, 0xffff, v112
	s_delay_alu instid0(VALU_DEP_4) | instskip(NEXT) | instid1(VALU_DEP_4)
	v_mad_u32_u24 v109, 0x190, v109, 0
	v_and_b32_e32 v111, 0xff, v80
	v_mul_lo_u16 v80, 0xcd, v82
	v_and_b32_e32 v82, 0xffff, v107
	v_mad_u32_u24 v112, 0x190, v112, 0
	s_delay_alu instid0(VALU_DEP_4) | instskip(NEXT) | instid1(VALU_DEP_4)
	v_lshlrev_b32_e32 v81, 6, v111
	v_lshrrev_b16 v113, 10, v80
	s_delay_alu instid0(VALU_DEP_4)
	v_mul_u32_u24_e32 v80, 0xcccd, v82
	v_sub_nc_u16 v82, v105, v83
	v_lshlrev_b32_e32 v111, 4, v111
	s_clause 0x1
	global_load_b128 v[116:119], v81, s[4:5]
	global_load_b128 v[120:123], v81, s[4:5] offset:16
	v_lshrrev_b32_e32 v80, 18, v80
	v_mul_lo_u16 v83, v113, 5
	v_and_b32_e32 v114, 0xff, v82
	s_clause 0x1
	global_load_b128 v[124:127], v81, s[4:5] offset:32
	global_load_b128 v[128:131], v81, s[4:5] offset:48
	v_and_b32_e32 v113, 0xffff, v113
	v_mul_lo_u16 v80, v80, 5
	v_sub_nc_u16 v82, v106, v83
	v_lshlrev_b32_e32 v81, 6, v114
	v_add3_u32 v109, v109, v111, v102
	v_mad_u32_u24 v113, 0x190, v113, 0
	v_sub_nc_u16 v80, v107, v80
	v_and_b32_e32 v115, 0xff, v82
	s_clause 0x3
	global_load_b128 v[132:135], v81, s[4:5]
	global_load_b128 v[136:139], v81, s[4:5] offset:16
	global_load_b128 v[140:143], v81, s[4:5] offset:32
	;; [unrolled: 1-line block ×3, first 2 shown]
	v_and_b32_e32 v110, 0xffff, v80
	v_lshlrev_b32_e32 v82, 6, v115
	v_lshlrev_b32_e32 v111, 4, v114
	s_clause 0x1
	global_load_b128 v[148:151], v82, s[4:5]
	global_load_b128 v[152:155], v82, s[4:5] offset:16
	v_lshlrev_b32_e32 v80, 6, v110
	s_clause 0x5
	global_load_b128 v[156:159], v82, s[4:5] offset:32
	global_load_b128 v[160:163], v82, s[4:5] offset:48
	global_load_b128 v[92:95], v80, s[4:5]
	global_load_b128 v[88:91], v80, s[4:5] offset:16
	global_load_b128 v[84:87], v80, s[4:5] offset:32
	global_load_b128 v[80:83], v80, s[4:5] offset:48
	v_lshlrev_b32_e32 v114, 4, v115
	global_wb scope:SCOPE_SE
	s_wait_loadcnt_dscnt 0x0
	s_barrier_signal -1
	s_barrier_wait -1
	global_inv scope:SCOPE_SE
	v_add3_u32 v111, v112, v111, v102
	v_add3_u32 v112, v113, v114, v102
	v_mul_f64_e32 v[164:165], v[78:79], v[118:119]
	v_mul_f64_e32 v[118:119], v[76:77], v[118:119]
	;; [unrolled: 1-line block ×28, first 2 shown]
	v_fma_f64 v[164:165], v[76:77], v[116:117], -v[164:165]
	v_fma_f64 v[78:79], v[78:79], v[116:117], v[118:119]
	v_mul_f64_e32 v[116:117], v[26:27], v[86:87]
	v_mul_f64_e32 v[86:87], v[24:25], v[86:87]
	;; [unrolled: 1-line block ×4, first 2 shown]
	v_fma_f64 v[72:73], v[72:73], v[120:121], -v[166:167]
	v_fma_f64 v[74:75], v[74:75], v[120:121], v[122:123]
	v_fma_f64 v[68:69], v[68:69], v[124:125], -v[168:169]
	v_fma_f64 v[66:67], v[66:67], v[128:129], v[170:171]
	v_fma_f64 v[70:71], v[70:71], v[124:125], v[126:127]
	v_fma_f64 v[64:65], v[64:65], v[128:129], -v[130:131]
	v_fma_f64 v[120:121], v[60:61], v[132:133], -v[172:173]
	v_fma_f64 v[122:123], v[62:63], v[132:133], v[134:135]
	v_fma_f64 v[60:61], v[36:37], v[136:137], -v[174:175]
	v_fma_f64 v[62:63], v[38:39], v[136:137], v[138:139]
	v_fma_f64 v[56:57], v[56:57], v[140:141], -v[176:177]
	v_fma_f64 v[32:33], v[32:33], v[144:145], -v[178:179]
	v_fma_f64 v[58:59], v[58:59], v[140:141], v[142:143]
	v_fma_f64 v[34:35], v[34:35], v[144:145], v[146:147]
	v_fma_f64 v[124:125], v[44:45], v[148:149], -v[180:181]
	v_fma_f64 v[126:127], v[46:47], v[148:149], v[150:151]
	v_fma_f64 v[76:77], v[48:49], v[152:153], -v[182:183]
	;; [unrolled: 2-line block ×6, first 2 shown]
	v_fma_f64 v[42:43], v[22:23], v[88:89], v[90:91]
	v_add_f64_e32 v[92:93], v[14:15], v[78:79]
	v_fma_f64 v[20:21], v[24:25], v[84:85], -v[116:117]
	v_fma_f64 v[22:23], v[26:27], v[84:85], v[86:87]
	v_fma_f64 v[16:17], v[28:29], v[80:81], -v[118:119]
	v_fma_f64 v[18:19], v[30:31], v[80:81], v[82:83]
	v_add_f64_e32 v[28:29], v[12:13], v[164:165]
	v_add_f64_e64 v[26:27], v[164:165], -v[72:73]
	v_add_f64_e32 v[24:25], v[72:73], v[68:69]
	v_add_f64_e64 v[80:81], v[78:79], -v[66:67]
	v_add_f64_e64 v[84:85], v[72:73], -v[164:165]
	;; [unrolled: 1-line block ×3, first 2 shown]
	v_add_f64_e32 v[54:55], v[164:165], v[64:65]
	v_add_f64_e64 v[86:87], v[68:69], -v[64:65]
	v_add_f64_e32 v[88:89], v[74:75], v[70:71]
	v_add_f64_e32 v[90:91], v[78:79], v[66:67]
	v_add_f64_e64 v[116:117], v[78:79], -v[74:75]
	v_add_f64_e64 v[118:119], v[66:67], -v[70:71]
	;; [unrolled: 1-line block ×4, first 2 shown]
	v_add_f64_e32 v[132:133], v[60:61], v[56:57]
	v_add_f64_e32 v[134:135], v[120:121], v[32:33]
	;; [unrolled: 1-line block ×4, first 2 shown]
	v_add_f64_e64 v[82:83], v[74:75], -v[70:71]
	v_add_f64_e64 v[94:95], v[164:165], -v[64:65]
	v_add_f64_e32 v[140:141], v[76:77], v[44:45]
	v_add_f64_e32 v[144:145], v[48:49], v[46:47]
	v_add_f64_e32 v[142:143], v[124:125], v[36:37]
	v_add_f64_e32 v[146:147], v[126:127], v[38:39]
	v_add_f64_e64 v[130:131], v[72:73], -v[68:69]
	v_add_f64_e32 v[148:149], v[0:1], v[120:121]
	v_add_f64_e64 v[150:151], v[120:121], -v[60:61]
	v_add_f64_e64 v[152:153], v[32:33], -v[56:57]
	;; [unrolled: 1-line block ×4, first 2 shown]
	v_add_f64_e32 v[158:159], v[2:3], v[122:123]
	v_add_f64_e64 v[160:161], v[122:123], -v[62:63]
	v_add_f64_e64 v[162:163], v[34:35], -v[58:59]
	;; [unrolled: 1-line block ×3, first 2 shown]
	v_add_f64_e32 v[188:189], v[40:41], v[20:21]
	v_add_f64_e32 v[200:201], v[42:43], v[22:23]
	;; [unrolled: 1-line block ×4, first 2 shown]
	v_add_f64_e64 v[166:167], v[58:59], -v[34:35]
	v_add_f64_e32 v[168:169], v[4:5], v[124:125]
	v_add_f64_e64 v[170:171], v[124:125], -v[76:77]
	v_add_f64_e64 v[172:173], v[36:37], -v[44:45]
	;; [unrolled: 1-line block ×4, first 2 shown]
	v_add_f64_e32 v[178:179], v[6:7], v[126:127]
	v_add_f64_e64 v[180:181], v[126:127], -v[48:49]
	v_add_f64_e64 v[182:183], v[38:39], -v[46:47]
	;; [unrolled: 1-line block ×8, first 2 shown]
	v_fma_f64 v[218:219], v[24:25], -0.5, v[12:13]
	v_fma_f64 v[220:221], v[54:55], -0.5, v[12:13]
	;; [unrolled: 1-line block ×4, first 2 shown]
	v_add_f64_e64 v[222:223], v[76:77], -v[44:45]
	v_add_f64_e64 v[12:13], v[52:53], -v[18:19]
	v_add_f64_e32 v[224:225], v[26:27], v[30:31]
	v_add_f64_e64 v[14:15], v[42:43], -v[22:23]
	v_add_f64_e32 v[84:85], v[84:85], v[86:87]
	v_fma_f64 v[86:87], v[132:133], -0.5, v[0:1]
	v_add_f64_e64 v[24:25], v[50:51], -v[16:17]
	v_fma_f64 v[0:1], v[134:135], -0.5, v[0:1]
	v_add_f64_e32 v[92:93], v[92:93], v[74:75]
	v_fma_f64 v[74:75], v[136:137], -0.5, v[2:3]
	v_add_f64_e64 v[26:27], v[40:41], -v[20:21]
	v_fma_f64 v[2:3], v[138:139], -0.5, v[2:3]
	v_add_f64_e32 v[116:117], v[116:117], v[118:119]
	v_fma_f64 v[118:119], v[140:141], -0.5, v[4:5]
	v_add_f64_e32 v[78:79], v[78:79], v[128:129]
	;; [unrolled: 2-line block ×3, first 2 shown]
	v_fma_f64 v[132:133], v[144:145], -0.5, v[6:7]
	v_fma_f64 v[6:7], v[146:147], -0.5, v[6:7]
	;; [unrolled: 1-line block ×6, first 2 shown]
	v_add_f64_e64 v[120:121], v[120:121], -v[32:33]
	v_add_f64_e64 v[126:127], v[126:127], -v[38:39]
	;; [unrolled: 1-line block ×11, first 2 shown]
	v_add_f64_e32 v[134:135], v[150:151], v[152:153]
	v_add_f64_e32 v[136:137], v[154:155], v[156:157]
	;; [unrolled: 1-line block ×12, first 2 shown]
	v_fma_f64 v[156:157], v[80:81], s[2:3], v[218:219]
	v_fma_f64 v[160:161], v[82:83], s[6:7], v[220:221]
	;; [unrolled: 1-line block ×28, first 2 shown]
	v_add_f64_e32 v[48:49], v[190:191], v[192:193]
	v_add_f64_e32 v[60:61], v[196:197], v[198:199]
	;; [unrolled: 1-line block ×10, first 2 shown]
	v_fma_f64 v[128:129], v[82:83], s[10:11], v[156:157]
	v_fma_f64 v[138:139], v[80:81], s[10:11], v[160:161]
	s_wait_alu 0xfffe
	v_fma_f64 v[80:81], v[80:81], s[12:13], v[162:163]
	v_fma_f64 v[140:141], v[130:131], s[12:13], v[164:165]
	;; [unrolled: 1-line block ×8, first 2 shown]
	s_mov_b32 s6, 0x372fe950
	v_fma_f64 v[2:3], v[120:121], s[10:11], v[2:3]
	v_fma_f64 v[160:161], v[126:127], s[10:11], v[180:181]
	;; [unrolled: 1-line block ×18, first 2 shown]
	s_mov_b32 s7, 0x3fd3c6ef
	v_add_f64_e32 v[44:45], v[68:69], v[64:65]
	v_add_f64_e32 v[46:47], v[70:71], v[66:67]
	;; [unrolled: 1-line block ×6, first 2 shown]
	s_wait_alu 0xfffe
	v_fma_f64 v[56:57], v[224:225], s[6:7], v[128:129]
	v_fma_f64 v[68:69], v[84:85], s[6:7], v[138:139]
	v_fma_f64 v[76:77], v[84:85], s[6:7], v[80:81]
	v_fma_f64 v[58:59], v[116:117], s[6:7], v[140:141]
	v_fma_f64 v[66:67], v[116:117], s[6:7], v[88:89]
	v_fma_f64 v[70:71], v[78:79], s[6:7], v[130:131]
	v_fma_f64 v[78:79], v[78:79], s[6:7], v[90:91]
	v_fma_f64 v[80:81], v[134:135], s[6:7], v[94:95]
	v_fma_f64 v[88:89], v[136:137], s[6:7], v[150:151]
	v_fma_f64 v[92:93], v[136:137], s[6:7], v[0:1]
	v_fma_f64 v[94:95], v[144:145], s[6:7], v[2:3]
	v_fma_f64 v[124:125], v[148:149], s[6:7], v[160:161]
	v_fma_f64 v[128:129], v[148:149], s[6:7], v[4:5]
	v_fma_f64 v[130:131], v[154:155], s[6:7], v[6:7]
	v_fma_f64 v[0:1], v[48:49], s[6:7], v[164:165]
	v_fma_f64 v[4:5], v[60:61], s[6:7], v[166:167]
	v_fma_f64 v[2:3], v[62:63], s[6:7], v[168:169]
	v_fma_f64 v[6:7], v[74:75], s[6:7], v[170:171]
	v_fma_f64 v[64:65], v[224:225], s[6:7], v[82:83]
	v_fma_f64 v[82:83], v[142:143], s[6:7], v[122:123]
	v_fma_f64 v[90:91], v[144:145], s[6:7], v[158:159]
	v_fma_f64 v[84:85], v[134:135], s[6:7], v[86:87]
	v_fma_f64 v[86:87], v[142:143], s[6:7], v[156:157]
	v_fma_f64 v[116:117], v[146:147], s[6:7], v[120:121]
	v_fma_f64 v[120:121], v[146:147], s[6:7], v[118:119]
	v_fma_f64 v[118:119], v[152:153], s[6:7], v[126:127]
	v_fma_f64 v[126:127], v[154:155], s[6:7], v[162:163]
	v_fma_f64 v[122:123], v[152:153], s[6:7], v[132:133]
	ds_store_b128 v109, v[44:47]
	ds_store_b128 v109, v[56:59] offset:80
	ds_store_b128 v109, v[68:71] offset:160
	ds_store_b128 v109, v[76:79] offset:240
	ds_store_b128 v109, v[64:67] offset:320
	ds_store_b128 v111, v[32:35]
	ds_store_b128 v111, v[80:83] offset:80
	ds_store_b128 v111, v[88:91] offset:160
	ds_store_b128 v111, v[92:95] offset:240
	ds_store_b128 v111, v[84:87] offset:320
	;; [unrolled: 5-line block ×3, first 2 shown]
	s_and_saveexec_b32 s1, s0
	s_cbranch_execz .LBB0_22
; %bb.21:
	v_add_f64_e32 v[10:11], v[10:11], v[52:53]
	v_add_f64_e32 v[8:9], v[8:9], v[50:51]
	v_mul_f64_e32 v[32:33], s[2:3], v[26:27]
	v_mul_f64_e32 v[36:37], s[2:3], v[14:15]
	;; [unrolled: 1-line block ×8, first 2 shown]
	v_add_f64_e32 v[10:11], v[10:11], v[42:43]
	v_add_f64_e32 v[8:9], v[8:9], v[40:41]
	v_add_f64_e64 v[32:33], v[72:73], -v[32:33]
	v_add_f64_e32 v[30:31], v[36:37], v[30:31]
	v_add_f64_e32 v[34:35], v[54:55], v[34:35]
	v_add_f64_e64 v[28:29], v[28:29], -v[38:39]
	v_mul_f64_e32 v[38:39], s[6:7], v[60:61]
	v_mul_f64_e32 v[42:43], s[6:7], v[74:75]
	;; [unrolled: 1-line block ×4, first 2 shown]
	v_add_f64_e32 v[10:11], v[10:11], v[22:23]
	v_add_f64_e32 v[8:9], v[8:9], v[20:21]
	v_add_f64_e32 v[20:21], v[24:25], v[32:33]
	v_add_f64_e64 v[12:13], v[30:31], -v[12:13]
	v_add_f64_e32 v[22:23], v[26:27], v[34:35]
	v_add_f64_e64 v[24:25], v[28:29], -v[14:15]
	v_add_f64_e32 v[10:11], v[10:11], v[18:19]
	v_add_f64_e32 v[8:9], v[8:9], v[16:17]
	v_add_f64_e32 v[14:15], v[42:43], v[20:21]
	v_add_f64_e32 v[12:13], v[38:39], v[12:13]
	v_add_f64_e32 v[18:19], v[40:41], v[22:23]
	v_add_f64_e32 v[16:17], v[36:37], v[24:25]
	v_and_b32_e32 v20, 0xff, v107
	v_lshlrev_b32_e32 v21, 4, v110
	s_delay_alu instid0(VALU_DEP_2) | instskip(NEXT) | instid1(VALU_DEP_1)
	v_mul_lo_u16 v20, 0xcd, v20
	v_lshrrev_b16 v20, 10, v20
	s_delay_alu instid0(VALU_DEP_1) | instskip(NEXT) | instid1(VALU_DEP_1)
	v_and_b32_e32 v20, 0xffff, v20
	v_mad_u32_u24 v20, 0x190, v20, 0
	s_delay_alu instid0(VALU_DEP_1)
	v_add3_u32 v20, v20, v21, v102
	ds_store_b128 v20, v[8:11]
	ds_store_b128 v20, v[0:3] offset:80
	ds_store_b128 v20, v[4:7] offset:160
	;; [unrolled: 1-line block ×4, first 2 shown]
.LBB0_22:
	s_wait_alu 0xfffe
	s_or_b32 exec_lo, exec_lo, s1
	v_mul_lo_u16 v8, v108, 41
	global_wb scope:SCOPE_SE
	s_wait_dscnt 0x0
	s_barrier_signal -1
	s_barrier_wait -1
	global_inv scope:SCOPE_SE
	v_lshrrev_b16 v12, 10, v8
	s_mov_b32 s0, 0x667f3bcd
	s_mov_b32 s1, 0xbfe6a09e
	;; [unrolled: 1-line block ×3, first 2 shown]
	s_wait_alu 0xfffe
	s_mov_b32 s2, s0
	v_mul_lo_u16 v8, v12, 25
	s_mov_b32 s6, 0xcf328d46
	s_mov_b32 s7, 0xbfed906b
	;; [unrolled: 1-line block ×3, first 2 shown]
	s_wait_alu 0xfffe
	s_mov_b32 s14, s6
	v_sub_nc_u16 v8, v96, v8
	s_mov_b32 s10, 0xa6aea964
	s_mov_b32 s11, 0xbfd87de2
	;; [unrolled: 1-line block ×3, first 2 shown]
	s_wait_alu 0xfffe
	s_mov_b32 s12, s10
	v_and_b32_e32 v13, 0xff, v8
	v_and_b32_e32 v12, 0xffff, v12
	s_delay_alu instid0(VALU_DEP_2) | instskip(NEXT) | instid1(VALU_DEP_2)
	v_mul_u32_u24_e32 v8, 15, v13
	v_mad_u32_u24 v12, 0x1900, v12, 0
	v_lshlrev_b32_e32 v13, 4, v13
	s_delay_alu instid0(VALU_DEP_3)
	v_lshlrev_b32_e32 v66, 4, v8
	s_clause 0xe
	global_load_b128 v[8:11], v66, s[4:5] offset:320
	global_load_b128 v[14:17], v66, s[4:5] offset:336
	;; [unrolled: 1-line block ×15, first 2 shown]
	ds_load_b128 v[70:73], v104 offset:1200
	ds_load_b128 v[74:77], v104 offset:2400
	;; [unrolled: 1-line block ×15, first 2 shown]
	v_add3_u32 v12, v12, v13, v102
	s_wait_loadcnt_dscnt 0xe0e
	v_mul_f64_e32 v[94:95], v[72:73], v[10:11]
	v_mul_f64_e32 v[10:11], v[70:71], v[10:11]
	s_wait_loadcnt_dscnt 0xd0d
	v_mul_f64_e32 v[144:145], v[76:77], v[16:17]
	v_mul_f64_e32 v[16:17], v[74:75], v[16:17]
	;; [unrolled: 3-line block ×9, first 2 shown]
	s_wait_loadcnt 0x5
	v_mul_f64_e32 v[160:161], v[122:123], v[48:49]
	v_mul_f64_e32 v[48:49], v[120:121], v[48:49]
	s_wait_loadcnt_dscnt 0x401
	v_mul_f64_e32 v[162:163], v[138:139], v[52:53]
	v_mul_f64_e32 v[52:53], v[136:137], v[52:53]
	s_wait_loadcnt 0x3
	v_mul_f64_e32 v[164:165], v[118:119], v[56:57]
	v_mul_f64_e32 v[56:57], v[116:117], v[56:57]
	s_wait_loadcnt 0x2
	;; [unrolled: 3-line block ×3, first 2 shown]
	v_mul_f64_e32 v[168:169], v[126:127], v[64:65]
	v_mul_f64_e32 v[64:65], v[124:125], v[64:65]
	s_wait_loadcnt_dscnt 0x0
	v_mul_f64_e32 v[170:171], v[140:141], v[68:69]
	v_mul_f64_e32 v[68:69], v[142:143], v[68:69]
	v_fma_f64 v[70:71], v[70:71], v[8:9], -v[94:95]
	v_fma_f64 v[72:73], v[72:73], v[8:9], v[10:11]
	v_fma_f64 v[74:75], v[74:75], v[14:15], -v[144:145]
	v_fma_f64 v[14:15], v[76:77], v[14:15], v[16:17]
	;; [unrolled: 2-line block ×14, first 2 shown]
	v_fma_f64 v[64:65], v[142:143], v[66:67], v[170:171]
	v_fma_f64 v[66:67], v[140:141], v[66:67], -v[68:69]
	ds_load_b128 v[8:11], v103
	global_wb scope:SCOPE_SE
	s_wait_dscnt 0x0
	s_barrier_signal -1
	s_barrier_wait -1
	global_inv scope:SCOPE_SE
	v_add_f64_e64 v[36:37], v[8:9], -v[36:37]
	v_add_f64_e64 v[38:39], v[10:11], -v[38:39]
	;; [unrolled: 1-line block ×16, first 2 shown]
	v_fma_f64 v[8:9], v[8:9], 2.0, -v[36:37]
	v_fma_f64 v[10:11], v[10:11], 2.0, -v[38:39]
	v_add_f64_e32 v[76:77], v[38:39], v[40:41]
	v_add_f64_e64 v[68:69], v[36:37], -v[42:43]
	v_fma_f64 v[20:21], v[20:21], 2.0, -v[40:41]
	v_fma_f64 v[22:23], v[22:23], 2.0, -v[42:43]
	v_add_f64_e32 v[80:81], v[46:47], v[48:49]
	v_add_f64_e64 v[78:79], v[44:45], -v[50:51]
	;; [unrolled: 4-line block ×3, first 2 shown]
	v_fma_f64 v[28:29], v[28:29], 2.0, -v[48:49]
	v_fma_f64 v[30:31], v[30:31], 2.0, -v[50:51]
	v_add_f64_e64 v[86:87], v[60:61], -v[64:65]
	v_add_f64_e32 v[88:89], v[62:63], v[66:67]
	v_fma_f64 v[42:43], v[70:71], 2.0, -v[52:53]
	v_fma_f64 v[48:49], v[72:73], 2.0, -v[54:55]
	;; [unrolled: 1-line block ×10, first 2 shown]
	v_add_f64_e64 v[20:21], v[8:9], -v[20:21]
	v_add_f64_e64 v[22:23], v[10:11], -v[22:23]
	v_fma_f64 v[46:47], v[46:47], 2.0, -v[80:81]
	v_fma_f64 v[44:45], v[44:45], 2.0, -v[78:79]
	v_fma_f64 v[58:59], v[78:79], s[2:3], v[68:69]
	v_fma_f64 v[50:51], v[52:53], 2.0, -v[82:83]
	v_fma_f64 v[52:53], v[54:55], 2.0, -v[84:85]
	v_add_f64_e64 v[28:29], v[40:41], -v[28:29]
	v_fma_f64 v[54:55], v[60:61], 2.0, -v[86:87]
	v_fma_f64 v[56:57], v[62:63], 2.0, -v[88:89]
	v_add_f64_e64 v[30:31], v[14:15], -v[30:31]
	v_fma_f64 v[60:61], v[80:81], s[2:3], v[76:77]
	v_add_f64_e64 v[24:25], v[42:43], -v[24:25]
	v_add_f64_e64 v[26:27], v[48:49], -v[26:27]
	v_fma_f64 v[62:63], v[86:87], s[2:3], v[82:83]
	v_fma_f64 v[64:65], v[88:89], s[2:3], v[84:85]
	v_add_f64_e64 v[34:35], v[18:19], -v[34:35]
	v_add_f64_e64 v[32:33], v[16:17], -v[32:33]
	v_fma_f64 v[8:9], v[8:9], 2.0, -v[20:21]
	v_fma_f64 v[10:11], v[10:11], 2.0, -v[22:23]
	v_fma_f64 v[70:71], v[46:47], s[0:1], v[38:39]
	v_fma_f64 v[66:67], v[44:45], s[0:1], v[36:37]
	;; [unrolled: 1-line block ×3, first 2 shown]
	v_fma_f64 v[40:41], v[40:41], 2.0, -v[28:29]
	v_fma_f64 v[72:73], v[54:55], s[0:1], v[50:51]
	v_fma_f64 v[74:75], v[56:57], s[0:1], v[52:53]
	v_fma_f64 v[14:15], v[14:15], 2.0, -v[30:31]
	v_add_f64_e64 v[90:91], v[20:21], -v[30:31]
	v_add_f64_e32 v[92:93], v[22:23], v[28:29]
	v_fma_f64 v[60:61], v[78:79], s[2:3], v[60:61]
	v_fma_f64 v[62:63], v[88:89], s[0:1], v[62:63]
	;; [unrolled: 1-line block ×3, first 2 shown]
	v_add_f64_e64 v[28:29], v[24:25], -v[34:35]
	v_add_f64_e32 v[30:31], v[26:27], v[32:33]
	v_fma_f64 v[42:43], v[42:43], 2.0, -v[24:25]
	v_fma_f64 v[48:49], v[48:49], 2.0, -v[26:27]
	v_fma_f64 v[16:17], v[16:17], 2.0, -v[32:33]
	v_fma_f64 v[18:19], v[18:19], 2.0, -v[34:35]
	v_fma_f64 v[70:71], v[44:45], s[2:3], v[70:71]
	v_fma_f64 v[66:67], v[46:47], s[0:1], v[66:67]
	v_fma_f64 v[68:69], v[68:69], 2.0, -v[58:59]
	v_fma_f64 v[32:33], v[56:57], s[0:1], v[72:73]
	v_fma_f64 v[34:35], v[54:55], s[2:3], v[74:75]
	v_add_f64_e64 v[54:55], v[8:9], -v[40:41]
	v_fma_f64 v[72:73], v[20:21], 2.0, -v[90:91]
	v_fma_f64 v[74:75], v[22:23], 2.0, -v[92:93]
	;; [unrolled: 1-line block ×4, first 2 shown]
	v_add_f64_e64 v[56:57], v[10:11], -v[14:15]
	v_fma_f64 v[24:25], v[24:25], 2.0, -v[28:29]
	v_fma_f64 v[22:23], v[26:27], 2.0, -v[30:31]
	;; [unrolled: 1-line block ×3, first 2 shown]
	v_fma_f64 v[14:15], v[28:29], s[2:3], v[90:91]
	v_add_f64_e64 v[20:21], v[42:43], -v[16:17]
	v_add_f64_e64 v[18:19], v[48:49], -v[18:19]
	v_fma_f64 v[16:17], v[30:31], s[2:3], v[92:93]
	v_fma_f64 v[46:47], v[64:65], s[14:15], v[60:61]
	v_fma_f64 v[80:81], v[38:39], 2.0, -v[70:71]
	v_fma_f64 v[78:79], v[36:37], 2.0, -v[66:67]
	v_fma_f64 v[36:37], v[62:63], s[14:15], v[58:59]
	v_fma_f64 v[44:45], v[50:51], 2.0, -v[32:33]
	v_fma_f64 v[38:39], v[52:53], 2.0, -v[34:35]
	s_wait_alu 0xfffe
	v_fma_f64 v[94:95], v[32:33], s[12:13], v[66:67]
	v_fma_f64 v[108:109], v[34:35], s[12:13], v[70:71]
	v_fma_f64 v[82:83], v[8:9], 2.0, -v[54:55]
	v_fma_f64 v[86:87], v[40:41], s[10:11], v[68:69]
	v_fma_f64 v[84:85], v[10:11], 2.0, -v[56:57]
	v_fma_f64 v[50:51], v[24:25], s[0:1], v[72:73]
	v_fma_f64 v[52:53], v[22:23], s[0:1], v[74:75]
	;; [unrolled: 1-line block ×4, first 2 shown]
	v_fma_f64 v[42:43], v[42:43], 2.0, -v[20:21]
	v_fma_f64 v[48:49], v[48:49], 2.0, -v[18:19]
	v_fma_f64 v[16:17], v[28:29], s[2:3], v[16:17]
	v_fma_f64 v[10:11], v[62:63], s[12:13], v[46:47]
	v_add_f64_e64 v[18:19], v[54:55], -v[18:19]
	v_add_f64_e32 v[20:21], v[56:57], v[20:21]
	v_fma_f64 v[8:9], v[64:65], s[10:11], v[36:37]
	v_fma_f64 v[110:111], v[44:45], s[6:7], v[78:79]
	;; [unrolled: 1-line block ×9, first 2 shown]
	v_cmp_gt_u32_e64 s0, 25, v96
	v_add_f64_e64 v[34:35], v[82:83], -v[42:43]
	v_add_f64_e64 v[36:37], v[84:85], -v[48:49]
	v_fma_f64 v[42:43], v[90:91], 2.0, -v[14:15]
	v_fma_f64 v[48:49], v[60:61], 2.0, -v[10:11]
	;; [unrolled: 1-line block ×5, first 2 shown]
	v_fma_f64 v[38:39], v[38:39], s[10:11], v[110:111]
	v_fma_f64 v[40:41], v[44:45], s[12:13], v[112:113]
	v_fma_f64 v[44:45], v[92:93], 2.0, -v[16:17]
	v_fma_f64 v[62:63], v[66:67], 2.0, -v[30:31]
	;; [unrolled: 1-line block ×11, first 2 shown]
	ds_store_b128 v12, v[14:17] offset:5600
	ds_store_b128 v12, v[8:11] offset:6000
	;; [unrolled: 1-line block ×14, first 2 shown]
	ds_store_b128 v12, v[66:69]
	ds_store_b128 v12, v[70:73] offset:400
	global_wb scope:SCOPE_SE
	s_wait_dscnt 0x0
	s_barrier_signal -1
	s_barrier_wait -1
	global_inv scope:SCOPE_SE
	ds_load_b128 v[16:19], v103
	ds_load_b128 v[12:15], v104 offset:1200
	ds_load_b128 v[44:47], v104 offset:12800
	ds_load_b128 v[32:35], v104 offset:14000
	ds_load_b128 v[48:51], v104 offset:7600
	ds_load_b128 v[36:39], v104 offset:8800
	ds_load_b128 v[28:31], v104 offset:2400
	ds_load_b128 v[20:23], v104 offset:3600
	ds_load_b128 v[60:63], v104 offset:15200
	ds_load_b128 v[40:43], v104 offset:16400
	ds_load_b128 v[68:71], v104 offset:6400
	ds_load_b128 v[24:27], v104 offset:4800
	ds_load_b128 v[64:67], v104 offset:10000
	ds_load_b128 v[52:55], v104 offset:11200
	ds_load_b128 v[56:59], v104 offset:17600
	s_and_saveexec_b32 s1, s0
	s_cbranch_execz .LBB0_24
; %bb.23:
	ds_load_b128 v[8:11], v104 offset:6000
	ds_load_b128 v[0:3], v104 offset:12400
	;; [unrolled: 1-line block ×3, first 2 shown]
.LBB0_24:
	s_wait_alu 0xfffe
	s_or_b32 exec_lo, exec_lo, s1
	v_dual_mov_b32 v73, 0 :: v_dual_lshlrev_b32 v72, 1, v96
	v_lshlrev_b32_e32 v76, 1, v105
	v_lshlrev_b32_e32 v78, 1, v106
	s_mov_b32 s2, 0xe8584caa
	s_mov_b32 s3, 0x3febb67a
	v_mov_b32_e32 v79, v73
	v_mov_b32_e32 v77, v73
	v_lshlrev_b64_e32 v[74:75], 4, v[72:73]
	v_add_nc_u32_e32 v72, 0x258, v72
	s_mov_b32 s7, 0xbfebb67a
	v_lshlrev_b64_e32 v[84:85], 4, v[78:79]
	v_lshlrev_b64_e32 v[82:83], 4, v[76:77]
	s_wait_alu 0xfffe
	s_mov_b32 s6, s2
	v_add_co_u32 v80, s1, s4, v74
	s_wait_alu 0xf1ff
	v_add_co_ci_u32_e64 v81, s1, s5, v75, s1
	v_add_co_u32 v86, s1, s4, v82
	s_wait_alu 0xf1ff
	v_add_co_ci_u32_e64 v87, s1, s5, v83, s1
	v_dual_mov_b32 v83, v73 :: v_dual_lshlrev_b32 v82, 1, v107
	v_add_co_u32 v94, s1, s4, v84
	s_wait_alu 0xf1ff
	v_add_co_ci_u32_e64 v95, s1, s5, v85, s1
	s_delay_alu instid0(VALU_DEP_3)
	v_lshlrev_b64_e32 v[102:103], 4, v[82:83]
	s_clause 0x5
	global_load_b128 v[74:77], v[80:81], off offset:6336
	global_load_b128 v[78:81], v[80:81], off offset:6320
	;; [unrolled: 1-line block ×6, first 2 shown]
	v_lshlrev_b64_e32 v[94:95], 4, v[72:73]
	v_lshl_add_u32 v72, v101, 4, v97
	v_add_co_u32 v102, s1, s4, v102
	s_wait_alu 0xf1ff
	v_add_co_ci_u32_e64 v103, s1, s5, v103, s1
	s_delay_alu instid0(VALU_DEP_4)
	v_add_co_u32 v94, s1, s4, v94
	s_wait_alu 0xf1ff
	v_add_co_ci_u32_e64 v95, s1, s5, v95, s1
	s_clause 0x3
	global_load_b128 v[109:112], v[102:103], off offset:6320
	global_load_b128 v[113:116], v[102:103], off offset:6336
	;; [unrolled: 1-line block ×4, first 2 shown]
	global_wb scope:SCOPE_SE
	s_wait_loadcnt_dscnt 0x0
	s_barrier_signal -1
	s_barrier_wait -1
	global_inv scope:SCOPE_SE
	v_mul_f64_e32 v[127:128], v[34:35], v[84:85]
	v_mul_f64_e32 v[102:103], v[46:47], v[76:77]
	;; [unrolled: 1-line block ×20, first 2 shown]
	v_fma_f64 v[32:33], v[32:33], v[82:83], -v[127:128]
	v_fma_f64 v[44:45], v[44:45], v[74:75], -v[102:103]
	;; [unrolled: 1-line block ×3, first 2 shown]
	v_fma_f64 v[70:71], v[70:71], v[78:79], v[80:81]
	v_fma_f64 v[46:47], v[46:47], v[74:75], v[76:77]
	v_fma_f64 v[48:49], v[48:49], v[86:87], -v[125:126]
	v_fma_f64 v[50:51], v[50:51], v[86:87], v[88:89]
	v_fma_f64 v[34:35], v[34:35], v[82:83], v[84:85]
	v_fma_f64 v[36:37], v[36:37], v[105:106], -v[129:130]
	v_fma_f64 v[60:61], v[60:61], v[90:91], -v[131:132]
	v_fma_f64 v[38:39], v[38:39], v[105:106], v[107:108]
	v_fma_f64 v[62:63], v[62:63], v[90:91], v[92:93]
	v_fma_f64 v[64:65], v[64:65], v[109:110], -v[133:134]
	;; [unrolled: 4-line block ×3, first 2 shown]
	v_fma_f64 v[56:57], v[56:57], v[121:122], -v[139:140]
	v_fma_f64 v[54:55], v[54:55], v[117:118], v[119:120]
	v_fma_f64 v[58:59], v[58:59], v[121:122], v[123:124]
	v_add_f64_e32 v[74:75], v[68:69], v[44:45]
	v_add_f64_e32 v[94:95], v[16:17], v[68:69]
	;; [unrolled: 1-line block ×4, first 2 shown]
	v_add_f64_e64 v[102:103], v[70:71], -v[46:47]
	v_add_f64_e32 v[80:81], v[50:51], v[34:35]
	v_add_f64_e32 v[70:71], v[18:19], v[70:71]
	;; [unrolled: 1-line block ×14, first 2 shown]
	v_add_f64_e64 v[68:69], v[68:69], -v[44:45]
	v_add_f64_e32 v[117:118], v[24:25], v[52:53]
	v_add_f64_e32 v[119:120], v[26:27], v[54:55]
	v_add_f64_e64 v[50:51], v[50:51], -v[34:35]
	v_add_f64_e64 v[48:49], v[48:49], -v[32:33]
	;; [unrolled: 1-line block ×8, first 2 shown]
	v_fma_f64 v[74:75], v[74:75], -0.5, v[16:17]
	v_fma_f64 v[76:77], v[76:77], -0.5, v[18:19]
	;; [unrolled: 1-line block ×3, first 2 shown]
	v_add_f64_e32 v[12:13], v[94:95], v[44:45]
	v_fma_f64 v[80:81], v[80:81], -0.5, v[14:15]
	v_add_f64_e32 v[14:15], v[70:71], v[46:47]
	v_fma_f64 v[82:83], v[82:83], -0.5, v[28:29]
	;; [unrolled: 2-line block ×7, first 2 shown]
	v_add_f64_e32 v[26:27], v[115:116], v[42:43]
	v_add_f64_e32 v[28:29], v[117:118], v[56:57]
	;; [unrolled: 1-line block ×3, first 2 shown]
	v_fma_f64 v[32:33], v[102:103], s[2:3], v[74:75]
	s_wait_alu 0xfffe
	v_fma_f64 v[36:37], v[102:103], s[6:7], v[74:75]
	v_fma_f64 v[34:35], v[68:69], s[6:7], v[76:77]
	;; [unrolled: 1-line block ×19, first 2 shown]
	ds_store_b128 v104, v[12:15]
	ds_store_b128 v104, v[16:19] offset:1200
	ds_store_b128 v104, v[20:23] offset:2400
	;; [unrolled: 1-line block ×14, first 2 shown]
	s_and_saveexec_b32 s1, s0
	s_cbranch_execz .LBB0_26
; %bb.25:
	v_mov_b32_e32 v12, 0x177
	s_delay_alu instid0(VALU_DEP_1) | instskip(NEXT) | instid1(VALU_DEP_1)
	v_cndmask_b32_e64 v12, 0xffffffe7, v12, s0
	v_add_lshl_u32 v72, v96, v12, 1
	s_delay_alu instid0(VALU_DEP_1) | instskip(NEXT) | instid1(VALU_DEP_1)
	v_lshlrev_b64_e32 v[12:13], 4, v[72:73]
	v_add_co_u32 v16, s0, s4, v12
	s_wait_alu 0xf1ff
	s_delay_alu instid0(VALU_DEP_2)
	v_add_co_ci_u32_e64 v17, s0, s5, v13, s0
	s_clause 0x1
	global_load_b128 v[12:15], v[16:17], off offset:6320
	global_load_b128 v[16:19], v[16:17], off offset:6336
	s_wait_loadcnt 0x1
	v_mul_f64_e32 v[20:21], v[0:1], v[14:15]
	s_wait_loadcnt 0x0
	v_mul_f64_e32 v[22:23], v[4:5], v[18:19]
	v_mul_f64_e32 v[14:15], v[2:3], v[14:15]
	;; [unrolled: 1-line block ×3, first 2 shown]
	s_delay_alu instid0(VALU_DEP_4) | instskip(NEXT) | instid1(VALU_DEP_4)
	v_fma_f64 v[2:3], v[2:3], v[12:13], v[20:21]
	v_fma_f64 v[6:7], v[6:7], v[16:17], v[22:23]
	s_delay_alu instid0(VALU_DEP_4) | instskip(NEXT) | instid1(VALU_DEP_4)
	v_fma_f64 v[0:1], v[0:1], v[12:13], -v[14:15]
	v_fma_f64 v[4:5], v[4:5], v[16:17], -v[18:19]
	s_delay_alu instid0(VALU_DEP_4) | instskip(NEXT) | instid1(VALU_DEP_4)
	v_add_f64_e32 v[18:19], v[10:11], v[2:3]
	v_add_f64_e32 v[12:13], v[2:3], v[6:7]
	s_delay_alu instid0(VALU_DEP_3) | instskip(SKIP_2) | instid1(VALU_DEP_4)
	v_add_f64_e32 v[14:15], v[0:1], v[4:5]
	v_add_f64_e64 v[16:17], v[0:1], -v[4:5]
	v_add_f64_e32 v[0:1], v[8:9], v[0:1]
	v_fma_f64 v[10:11], v[12:13], -0.5, v[10:11]
	v_add_f64_e64 v[12:13], v[2:3], -v[6:7]
	v_fma_f64 v[14:15], v[14:15], -0.5, v[8:9]
	v_add_f64_e32 v[2:3], v[18:19], v[6:7]
	v_add_f64_e32 v[0:1], v[0:1], v[4:5]
	v_fma_f64 v[6:7], v[16:17], s[2:3], v[10:11]
	v_fma_f64 v[10:11], v[16:17], s[6:7], v[10:11]
	;; [unrolled: 1-line block ×4, first 2 shown]
	ds_store_b128 v104, v[0:3] offset:6000
	ds_store_b128 v104, v[8:11] offset:12400
	;; [unrolled: 1-line block ×3, first 2 shown]
.LBB0_26:
	s_wait_alu 0xfffe
	s_or_b32 exec_lo, exec_lo, s1
	global_wb scope:SCOPE_SE
	s_wait_dscnt 0x0
	s_barrier_signal -1
	s_barrier_wait -1
	global_inv scope:SCOPE_SE
	s_and_saveexec_b32 s0, vcc_lo
	s_cbranch_execz .LBB0_28
; %bb.27:
	v_lshl_add_u32 v34, v96, 4, v100
	v_dual_mov_b32 v97, 0 :: v_dual_add_nc_u32 v8, 0x4b, v96
	v_add_co_u32 v36, vcc_lo, s8, v98
	ds_load_b128 v[0:3], v34
	ds_load_b128 v[4:7], v34 offset:1200
	v_dual_mov_b32 v9, v97 :: v_dual_add_nc_u32 v12, 0x96, v96
	v_lshlrev_b64_e32 v[10:11], 4, v[96:97]
	s_wait_alu 0xfffd
	v_add_co_ci_u32_e32 v37, vcc_lo, s9, v99, vcc_lo
	s_delay_alu instid0(VALU_DEP_3) | instskip(SKIP_1) | instid1(VALU_DEP_4)
	v_lshlrev_b64_e32 v[8:9], 4, v[8:9]
	v_dual_mov_b32 v13, v97 :: v_dual_add_nc_u32 v14, 0xe1, v96
	v_add_co_u32 v10, vcc_lo, v36, v10
	s_wait_alu 0xfffd
	v_add_co_ci_u32_e32 v11, vcc_lo, v37, v11, vcc_lo
	s_delay_alu instid0(VALU_DEP_4)
	v_add_co_u32 v8, vcc_lo, v36, v8
	s_wait_alu 0xfffd
	v_add_co_ci_u32_e32 v9, vcc_lo, v37, v9, vcc_lo
	v_lshlrev_b64_e32 v[12:13], 4, v[12:13]
	v_mov_b32_e32 v15, v97
	v_dual_mov_b32 v23, v97 :: v_dual_add_nc_u32 v24, 0x1c2, v96
	s_wait_dscnt 0x1
	global_store_b128 v[10:11], v[0:3], off
	s_wait_dscnt 0x0
	global_store_b128 v[8:9], v[4:7], off
	v_dual_mov_b32 v9, v97 :: v_dual_add_nc_u32 v8, 0x12c, v96
	v_add_nc_u32_e32 v22, 0x177, v96
	v_add_co_u32 v16, vcc_lo, v36, v12
	s_wait_alu 0xfffd
	v_add_co_ci_u32_e32 v17, vcc_lo, v37, v13, vcc_lo
	ds_load_b128 v[0:3], v34 offset:2400
	ds_load_b128 v[4:7], v34 offset:3600
	v_lshlrev_b64_e32 v[18:19], 4, v[14:15]
	v_lshlrev_b64_e32 v[20:21], 4, v[8:9]
	ds_load_b128 v[8:11], v34 offset:4800
	ds_load_b128 v[12:15], v34 offset:6000
	v_lshlrev_b64_e32 v[22:23], 4, v[22:23]
	v_mov_b32_e32 v25, v97
	v_add_co_u32 v18, vcc_lo, v36, v18
	s_wait_alu 0xfffd
	v_add_co_ci_u32_e32 v19, vcc_lo, v37, v19, vcc_lo
	v_add_co_u32 v20, vcc_lo, v36, v20
	s_wait_alu 0xfffd
	v_add_co_ci_u32_e32 v21, vcc_lo, v37, v21, vcc_lo
	;; [unrolled: 3-line block ×3, first 2 shown]
	s_wait_dscnt 0x3
	global_store_b128 v[16:17], v[0:3], off
	s_wait_dscnt 0x2
	global_store_b128 v[18:19], v[4:7], off
	;; [unrolled: 2-line block ×4, first 2 shown]
	v_add_nc_u32_e32 v8, 0x20d, v96
	v_lshlrev_b64_e32 v[0:1], 4, v[24:25]
	v_dual_mov_b32 v9, v97 :: v_dual_add_nc_u32 v10, 0x258, v96
	v_dual_mov_b32 v11, v97 :: v_dual_add_nc_u32 v22, 0x2a3, v96
	;; [unrolled: 1-line block ×3, first 2 shown]
	s_delay_alu instid0(VALU_DEP_4)
	v_add_co_u32 v16, vcc_lo, v36, v0
	s_wait_alu 0xfffd
	v_add_co_ci_u32_e32 v17, vcc_lo, v37, v1, vcc_lo
	ds_load_b128 v[0:3], v34 offset:7200
	ds_load_b128 v[4:7], v34 offset:8400
	v_lshlrev_b64_e32 v[18:19], 4, v[8:9]
	v_lshlrev_b64_e32 v[20:21], 4, v[10:11]
	ds_load_b128 v[8:11], v34 offset:9600
	ds_load_b128 v[12:15], v34 offset:10800
	v_lshlrev_b64_e32 v[22:23], 4, v[22:23]
	v_add_co_u32 v18, vcc_lo, v36, v18
	s_wait_alu 0xfffd
	v_add_co_ci_u32_e32 v19, vcc_lo, v37, v19, vcc_lo
	v_add_co_u32 v20, vcc_lo, v36, v20
	s_wait_alu 0xfffd
	v_add_co_ci_u32_e32 v21, vcc_lo, v37, v21, vcc_lo
	v_add_co_u32 v22, vcc_lo, v36, v22
	s_wait_dscnt 0x3
	global_store_b128 v[16:17], v[0:3], off
	s_wait_dscnt 0x2
	global_store_b128 v[18:19], v[4:7], off
	v_dual_mov_b32 v3, v97 :: v_dual_add_nc_u32 v2, 0x339, v96
	s_wait_alu 0xfffd
	v_add_co_ci_u32_e32 v23, vcc_lo, v37, v23, vcc_lo
	v_lshlrev_b64_e32 v[0:1], 4, v[24:25]
	s_wait_dscnt 0x1
	global_store_b128 v[20:21], v[8:11], off
	s_wait_dscnt 0x0
	global_store_b128 v[22:23], v[12:15], off
	v_lshlrev_b64_e32 v[8:9], 4, v[2:3]
	v_dual_mov_b32 v11, v97 :: v_dual_add_nc_u32 v10, 0x384, v96
	v_add_co_u32 v24, vcc_lo, v36, v0
	s_wait_alu 0xfffd
	v_add_co_ci_u32_e32 v25, vcc_lo, v37, v1, vcc_lo
	s_delay_alu instid0(VALU_DEP_4)
	v_add_co_u32 v26, vcc_lo, v36, v8
	s_wait_alu 0xfffd
	v_add_co_ci_u32_e32 v27, vcc_lo, v37, v9, vcc_lo
	v_lshlrev_b64_e32 v[8:9], 4, v[10:11]
	v_dual_mov_b32 v17, v97 :: v_dual_add_nc_u32 v16, 0x3cf, v96
	v_dual_mov_b32 v19, v97 :: v_dual_add_nc_u32 v18, 0x41a, v96
	ds_load_b128 v[0:3], v34 offset:12000
	ds_load_b128 v[4:7], v34 offset:13200
	v_add_co_u32 v28, vcc_lo, v36, v8
	s_wait_alu 0xfffd
	v_add_co_ci_u32_e32 v29, vcc_lo, v37, v9, vcc_lo
	ds_load_b128 v[8:11], v34 offset:14400
	ds_load_b128 v[12:15], v34 offset:15600
	v_lshlrev_b64_e32 v[30:31], 4, v[16:17]
	v_lshlrev_b64_e32 v[32:33], 4, v[18:19]
	ds_load_b128 v[16:19], v34 offset:16800
	ds_load_b128 v[20:23], v34 offset:18000
	v_add_nc_u32_e32 v96, 0x465, v96
	v_add_co_u32 v30, vcc_lo, v36, v30
	s_delay_alu instid0(VALU_DEP_2)
	v_lshlrev_b64_e32 v[34:35], 4, v[96:97]
	s_wait_alu 0xfffd
	v_add_co_ci_u32_e32 v31, vcc_lo, v37, v31, vcc_lo
	v_add_co_u32 v32, vcc_lo, v36, v32
	s_wait_alu 0xfffd
	v_add_co_ci_u32_e32 v33, vcc_lo, v37, v33, vcc_lo
	v_add_co_u32 v34, vcc_lo, v36, v34
	s_wait_alu 0xfffd
	v_add_co_ci_u32_e32 v35, vcc_lo, v37, v35, vcc_lo
	s_wait_dscnt 0x5
	global_store_b128 v[24:25], v[0:3], off
	s_wait_dscnt 0x4
	global_store_b128 v[26:27], v[4:7], off
	;; [unrolled: 2-line block ×6, first 2 shown]
.LBB0_28:
	s_nop 0
	s_sendmsg sendmsg(MSG_DEALLOC_VGPRS)
	s_endpgm
	.section	.rodata,"a",@progbits
	.p2align	6, 0x0
	.amdhsa_kernel fft_rtc_fwd_len1200_factors_5_5_16_3_wgs_225_tpt_75_halfLds_dp_ip_CI_unitstride_sbrr_C2R_dirReg
		.amdhsa_group_segment_fixed_size 0
		.amdhsa_private_segment_fixed_size 0
		.amdhsa_kernarg_size 88
		.amdhsa_user_sgpr_count 2
		.amdhsa_user_sgpr_dispatch_ptr 0
		.amdhsa_user_sgpr_queue_ptr 0
		.amdhsa_user_sgpr_kernarg_segment_ptr 1
		.amdhsa_user_sgpr_dispatch_id 0
		.amdhsa_user_sgpr_private_segment_size 0
		.amdhsa_wavefront_size32 1
		.amdhsa_uses_dynamic_stack 0
		.amdhsa_enable_private_segment 0
		.amdhsa_system_sgpr_workgroup_id_x 1
		.amdhsa_system_sgpr_workgroup_id_y 0
		.amdhsa_system_sgpr_workgroup_id_z 0
		.amdhsa_system_sgpr_workgroup_info 0
		.amdhsa_system_vgpr_workitem_id 0
		.amdhsa_next_free_vgpr 226
		.amdhsa_next_free_sgpr 32
		.amdhsa_reserve_vcc 1
		.amdhsa_float_round_mode_32 0
		.amdhsa_float_round_mode_16_64 0
		.amdhsa_float_denorm_mode_32 3
		.amdhsa_float_denorm_mode_16_64 3
		.amdhsa_fp16_overflow 0
		.amdhsa_workgroup_processor_mode 1
		.amdhsa_memory_ordered 1
		.amdhsa_forward_progress 0
		.amdhsa_round_robin_scheduling 0
		.amdhsa_exception_fp_ieee_invalid_op 0
		.amdhsa_exception_fp_denorm_src 0
		.amdhsa_exception_fp_ieee_div_zero 0
		.amdhsa_exception_fp_ieee_overflow 0
		.amdhsa_exception_fp_ieee_underflow 0
		.amdhsa_exception_fp_ieee_inexact 0
		.amdhsa_exception_int_div_zero 0
	.end_amdhsa_kernel
	.text
.Lfunc_end0:
	.size	fft_rtc_fwd_len1200_factors_5_5_16_3_wgs_225_tpt_75_halfLds_dp_ip_CI_unitstride_sbrr_C2R_dirReg, .Lfunc_end0-fft_rtc_fwd_len1200_factors_5_5_16_3_wgs_225_tpt_75_halfLds_dp_ip_CI_unitstride_sbrr_C2R_dirReg
                                        ; -- End function
	.section	.AMDGPU.csdata,"",@progbits
; Kernel info:
; codeLenInByte = 13456
; NumSgprs: 34
; NumVgprs: 226
; ScratchSize: 0
; MemoryBound: 0
; FloatMode: 240
; IeeeMode: 1
; LDSByteSize: 0 bytes/workgroup (compile time only)
; SGPRBlocks: 4
; VGPRBlocks: 28
; NumSGPRsForWavesPerEU: 34
; NumVGPRsForWavesPerEU: 226
; Occupancy: 6
; WaveLimiterHint : 1
; COMPUTE_PGM_RSRC2:SCRATCH_EN: 0
; COMPUTE_PGM_RSRC2:USER_SGPR: 2
; COMPUTE_PGM_RSRC2:TRAP_HANDLER: 0
; COMPUTE_PGM_RSRC2:TGID_X_EN: 1
; COMPUTE_PGM_RSRC2:TGID_Y_EN: 0
; COMPUTE_PGM_RSRC2:TGID_Z_EN: 0
; COMPUTE_PGM_RSRC2:TIDIG_COMP_CNT: 0
	.text
	.p2alignl 7, 3214868480
	.fill 96, 4, 3214868480
	.type	__hip_cuid_45a32683cc87fa43,@object ; @__hip_cuid_45a32683cc87fa43
	.section	.bss,"aw",@nobits
	.globl	__hip_cuid_45a32683cc87fa43
__hip_cuid_45a32683cc87fa43:
	.byte	0                               ; 0x0
	.size	__hip_cuid_45a32683cc87fa43, 1

	.ident	"AMD clang version 19.0.0git (https://github.com/RadeonOpenCompute/llvm-project roc-6.4.0 25133 c7fe45cf4b819c5991fe208aaa96edf142730f1d)"
	.section	".note.GNU-stack","",@progbits
	.addrsig
	.addrsig_sym __hip_cuid_45a32683cc87fa43
	.amdgpu_metadata
---
amdhsa.kernels:
  - .args:
      - .actual_access:  read_only
        .address_space:  global
        .offset:         0
        .size:           8
        .value_kind:     global_buffer
      - .offset:         8
        .size:           8
        .value_kind:     by_value
      - .actual_access:  read_only
        .address_space:  global
        .offset:         16
        .size:           8
        .value_kind:     global_buffer
      - .actual_access:  read_only
        .address_space:  global
        .offset:         24
        .size:           8
        .value_kind:     global_buffer
      - .offset:         32
        .size:           8
        .value_kind:     by_value
      - .actual_access:  read_only
        .address_space:  global
        .offset:         40
        .size:           8
        .value_kind:     global_buffer
      - .actual_access:  read_only
        .address_space:  global
        .offset:         48
        .size:           8
        .value_kind:     global_buffer
      - .offset:         56
        .size:           4
        .value_kind:     by_value
      - .actual_access:  read_only
        .address_space:  global
        .offset:         64
        .size:           8
        .value_kind:     global_buffer
      - .actual_access:  read_only
        .address_space:  global
        .offset:         72
        .size:           8
        .value_kind:     global_buffer
      - .address_space:  global
        .offset:         80
        .size:           8
        .value_kind:     global_buffer
    .group_segment_fixed_size: 0
    .kernarg_segment_align: 8
    .kernarg_segment_size: 88
    .language:       OpenCL C
    .language_version:
      - 2
      - 0
    .max_flat_workgroup_size: 225
    .name:           fft_rtc_fwd_len1200_factors_5_5_16_3_wgs_225_tpt_75_halfLds_dp_ip_CI_unitstride_sbrr_C2R_dirReg
    .private_segment_fixed_size: 0
    .sgpr_count:     34
    .sgpr_spill_count: 0
    .symbol:         fft_rtc_fwd_len1200_factors_5_5_16_3_wgs_225_tpt_75_halfLds_dp_ip_CI_unitstride_sbrr_C2R_dirReg.kd
    .uniform_work_group_size: 1
    .uses_dynamic_stack: false
    .vgpr_count:     226
    .vgpr_spill_count: 0
    .wavefront_size: 32
    .workgroup_processor_mode: 1
amdhsa.target:   amdgcn-amd-amdhsa--gfx1201
amdhsa.version:
  - 1
  - 2
...

	.end_amdgpu_metadata
